;; amdgpu-corpus repo=ROCm/rocFFT kind=compiled arch=gfx906 opt=O3
	.text
	.amdgcn_target "amdgcn-amd-amdhsa--gfx906"
	.amdhsa_code_object_version 6
	.protected	bluestein_single_fwd_len1080_dim1_dp_op_CI_CI ; -- Begin function bluestein_single_fwd_len1080_dim1_dp_op_CI_CI
	.globl	bluestein_single_fwd_len1080_dim1_dp_op_CI_CI
	.p2align	8
	.type	bluestein_single_fwd_len1080_dim1_dp_op_CI_CI,@function
bluestein_single_fwd_len1080_dim1_dp_op_CI_CI: ; @bluestein_single_fwd_len1080_dim1_dp_op_CI_CI
; %bb.0:
	s_load_dwordx4 s[8:11], s[4:5], 0x28
	v_mul_u32_u24_e32 v1, 0x25f, v0
	v_lshrrev_b32_e32 v32, 16, v1
	v_lshl_add_u32 v184, s6, 1, v32
	v_mov_b32_e32 v185, 0
	s_waitcnt lgkmcnt(0)
	v_cmp_gt_u64_e32 vcc, s[8:9], v[184:185]
	s_and_saveexec_b64 s[0:1], vcc
	s_cbranch_execz .LBB0_31
; %bb.1:
	s_load_dwordx4 s[0:3], s[4:5], 0x18
	s_load_dwordx2 s[6:7], s[4:5], 0x0
	v_mul_lo_u16_e32 v1, 0x6c, v32
	v_sub_u16_e32 v186, v0, v1
	v_lshlrev_b32_e32 v193, 4, v186
	s_waitcnt lgkmcnt(0)
	s_load_dwordx4 s[12:15], s[0:1], 0x0
	v_and_b32_e32 v32, 1, v32
	v_mov_b32_e32 v57, 0x438
	s_waitcnt lgkmcnt(0)
	v_mad_u64_u32 v[0:1], s[0:1], s14, v184, 0
	v_mad_u64_u32 v[2:3], s[0:1], s12, v186, 0
	;; [unrolled: 1-line block ×3, first 2 shown]
	s_load_dwordx2 s[14:15], s[4:5], 0x38
	v_mad_u64_u32 v[5:6], s[0:1], s13, v186, v[3:4]
	v_mov_b32_e32 v1, v4
	v_lshlrev_b64 v[0:1], 4, v[0:1]
	v_mov_b32_e32 v6, s11
	v_mov_b32_e32 v3, v5
	v_add_co_u32_e32 v4, vcc, s10, v0
	v_addc_co_u32_e32 v5, vcc, v6, v1, vcc
	v_lshlrev_b64 v[0:1], 4, v[2:3]
	v_mov_b32_e32 v2, s7
	v_add_co_u32_e32 v0, vcc, v4, v0
	v_addc_co_u32_e32 v1, vcc, v5, v1, vcc
	v_add_co_u32_e32 v182, vcc, s6, v193
	v_addc_co_u32_e64 v183, s[0:1], 0, v2, vcc
	s_mul_i32 s0, s13, 0xb4
	s_mul_hi_u32 s1, s12, 0xb4
	s_add_i32 s1, s1, s0
	s_mul_i32 s0, s12, 0xb4
	s_lshl_b64 s[16:17], s[0:1], 4
	v_mov_b32_e32 v14, s17
	v_add_co_u32_e64 v2, s[0:1], s16, v0
	v_addc_co_u32_e64 v3, s[0:1], v1, v14, s[0:1]
	global_load_dwordx4 v[33:36], v[0:1], off
	global_load_dwordx4 v[37:40], v[2:3], off
	global_load_dwordx4 v[20:23], v193, s[6:7]
	global_load_dwordx4 v[16:19], v193, s[6:7] offset:2880
	v_add_co_u32_e64 v0, s[0:1], s16, v2
	v_addc_co_u32_e64 v1, s[0:1], v3, v14, s[0:1]
	s_movk_i32 s0, 0x1000
	v_add_co_u32_e64 v24, s[0:1], s0, v182
	v_addc_co_u32_e64 v25, s[0:1], 0, v183, s[0:1]
	global_load_dwordx4 v[41:44], v[0:1], off
	v_add_co_u32_e64 v0, s[0:1], s16, v0
	v_addc_co_u32_e64 v1, s[0:1], v1, v14, s[0:1]
	s_movk_i32 s0, 0x2000
	v_add_co_u32_e64 v26, s[0:1], s0, v182
	v_addc_co_u32_e64 v27, s[0:1], 0, v183, s[0:1]
	v_add_co_u32_e64 v12, s[0:1], s16, v0
	v_addc_co_u32_e64 v13, s[0:1], v1, v14, s[0:1]
	;; [unrolled: 2-line block ×3, first 2 shown]
	global_load_dwordx4 v[4:7], v[24:25], off offset:1664
	s_movk_i32 s0, 0x3000
	global_load_dwordx4 v[45:48], v[0:1], off
	v_add_co_u32_e64 v28, s[0:1], s0, v182
	global_load_dwordx4 v[49:52], v[12:13], off
	global_load_dwordx4 v[8:11], v[26:27], off offset:448
	global_load_dwordx4 v[0:3], v[26:27], off offset:3328
	v_addc_co_u32_e64 v29, s[0:1], 0, v183, s[0:1]
	global_load_dwordx4 v[12:15], v[28:29], off offset:2112
	global_load_dwordx4 v[53:56], v[30:31], off
	v_cmp_eq_u32_e64 s[0:1], 1, v32
	v_cndmask_b32_e64 v195, 0, v57, s[0:1]
	s_load_dwordx4 s[8:11], s[2:3], 0x0
	s_movk_i32 s6, 0x48
	v_lshlrev_b32_e32 v187, 4, v195
	v_add_u32_e32 v185, v187, v193
	v_cmp_gt_u16_e64 s[0:1], s6, v186
	s_waitcnt vmcnt(9)
	v_mul_f64 v[57:58], v[35:36], v[22:23]
	v_mul_f64 v[59:60], v[33:34], v[22:23]
	s_waitcnt vmcnt(8)
	v_mul_f64 v[61:62], v[39:40], v[18:19]
	v_mul_f64 v[63:64], v[37:38], v[18:19]
	v_fma_f64 v[32:33], v[33:34], v[20:21], v[57:58]
	v_fma_f64 v[34:35], v[35:36], v[20:21], -v[59:60]
	v_fma_f64 v[36:37], v[37:38], v[16:17], v[61:62]
	v_fma_f64 v[38:39], v[39:40], v[16:17], -v[63:64]
	s_waitcnt vmcnt(6)
	v_mul_f64 v[65:66], v[43:44], v[6:7]
	v_mul_f64 v[67:68], v[41:42], v[6:7]
	s_waitcnt vmcnt(3)
	v_mul_f64 v[69:70], v[47:48], v[10:11]
	v_mul_f64 v[71:72], v[45:46], v[10:11]
	;; [unrolled: 3-line block ×4, first 2 shown]
	v_fma_f64 v[40:41], v[41:42], v[4:5], v[65:66]
	v_fma_f64 v[42:43], v[43:44], v[4:5], -v[67:68]
	v_fma_f64 v[44:45], v[45:46], v[8:9], v[69:70]
	v_fma_f64 v[46:47], v[47:48], v[8:9], -v[71:72]
	;; [unrolled: 2-line block ×4, first 2 shown]
	ds_write_b128 v185, v[32:35]
	ds_write_b128 v185, v[36:39] offset:2880
	ds_write_b128 v185, v[40:43] offset:5760
	;; [unrolled: 1-line block ×5, first 2 shown]
	s_and_saveexec_b64 s[18:19], s[0:1]
	s_cbranch_execz .LBB0_3
; %bb.2:
	v_mov_b32_e32 v32, 0xffffce80
	v_mad_u64_u32 v[34:35], s[2:3], s12, v32, v[30:31]
	s_mul_i32 s2, s13, 0xffffce80
	s_sub_i32 s2, s2, s12
	v_add_u32_e32 v35, s2, v35
	v_mov_b32_e32 v64, s17
	v_add_co_u32_e64 v46, s[2:3], s16, v34
	v_addc_co_u32_e64 v47, s[2:3], v35, v64, s[2:3]
	v_add_co_u32_e64 v50, s[2:3], s16, v46
	v_addc_co_u32_e64 v51, s[2:3], v47, v64, s[2:3]
	global_load_dwordx4 v[30:33], v[34:35], off
	v_add_co_u32_e64 v62, s[2:3], s16, v50
	global_load_dwordx4 v[34:37], v[46:47], off
	global_load_dwordx4 v[38:41], v[182:183], off offset:1728
	global_load_dwordx4 v[42:45], v[24:25], off offset:512
	v_addc_co_u32_e64 v63, s[2:3], v51, v64, s[2:3]
	global_load_dwordx4 v[46:49], v[50:51], off
	s_nop 0
	global_load_dwordx4 v[50:53], v[62:63], off
	global_load_dwordx4 v[54:57], v[24:25], off offset:3392
	global_load_dwordx4 v[58:61], v[26:27], off offset:2176
	v_add_co_u32_e64 v62, s[2:3], s16, v62
	v_addc_co_u32_e64 v63, s[2:3], v63, v64, s[2:3]
	global_load_dwordx4 v[24:27], v[62:63], off
	v_add_co_u32_e64 v74, s[2:3], s16, v62
	v_addc_co_u32_e64 v75, s[2:3], v63, v64, s[2:3]
	global_load_dwordx4 v[62:65], v[28:29], off offset:960
	global_load_dwordx4 v[66:69], v[28:29], off offset:3840
	global_load_dwordx4 v[70:73], v[74:75], off
	s_waitcnt vmcnt(9)
	v_mul_f64 v[28:29], v[32:33], v[40:41]
	v_mul_f64 v[40:41], v[30:31], v[40:41]
	s_waitcnt vmcnt(8)
	v_mul_f64 v[74:75], v[36:37], v[44:45]
	v_mul_f64 v[44:45], v[34:35], v[44:45]
	;; [unrolled: 3-line block ×4, first 2 shown]
	v_fma_f64 v[28:29], v[30:31], v[38:39], v[28:29]
	v_fma_f64 v[30:31], v[32:33], v[38:39], -v[40:41]
	v_fma_f64 v[32:33], v[34:35], v[42:43], v[74:75]
	v_fma_f64 v[34:35], v[36:37], v[42:43], -v[44:45]
	v_fma_f64 v[36:37], v[46:47], v[54:55], v[76:77]
	s_waitcnt vmcnt(2)
	v_mul_f64 v[80:81], v[26:27], v[64:65]
	v_mul_f64 v[64:65], v[24:25], v[64:65]
	s_waitcnt vmcnt(0)
	v_mul_f64 v[82:83], v[72:73], v[68:69]
	v_mul_f64 v[68:69], v[70:71], v[68:69]
	v_fma_f64 v[38:39], v[48:49], v[54:55], -v[56:57]
	v_fma_f64 v[40:41], v[50:51], v[58:59], v[78:79]
	v_fma_f64 v[42:43], v[52:53], v[58:59], -v[60:61]
	v_fma_f64 v[24:25], v[24:25], v[62:63], v[80:81]
	;; [unrolled: 2-line block ×3, first 2 shown]
	v_fma_f64 v[46:47], v[72:73], v[66:67], -v[68:69]
	ds_write_b128 v185, v[28:31] offset:1728
	ds_write_b128 v185, v[32:35] offset:4608
	;; [unrolled: 1-line block ×6, first 2 shown]
.LBB0_3:
	s_or_b64 exec, exec, s[18:19]
	s_waitcnt lgkmcnt(0)
	s_barrier
	ds_read_b128 v[64:67], v185
	ds_read_b128 v[52:55], v185 offset:2880
	ds_read_b128 v[68:71], v185 offset:5760
	;; [unrolled: 1-line block ×5, first 2 shown]
	s_load_dwordx2 s[12:13], s[4:5], 0x8
                                        ; implicit-def: $vgpr24_vgpr25
                                        ; implicit-def: $vgpr28_vgpr29
                                        ; implicit-def: $vgpr32_vgpr33
                                        ; implicit-def: $vgpr36_vgpr37
                                        ; implicit-def: $vgpr40_vgpr41
                                        ; implicit-def: $vgpr44_vgpr45
	s_and_saveexec_b64 s[2:3], s[0:1]
	s_cbranch_execz .LBB0_5
; %bb.4:
	ds_read_b128 v[24:27], v185 offset:1728
	ds_read_b128 v[28:31], v185 offset:4608
	;; [unrolled: 1-line block ×6, first 2 shown]
.LBB0_5:
	s_or_b64 exec, exec, s[2:3]
	s_waitcnt lgkmcnt(0)
	v_add_f64 v[74:75], v[68:69], v[60:61]
	v_add_f64 v[76:77], v[56:57], v[48:49]
	;; [unrolled: 1-line block ×4, first 2 shown]
	s_movk_i32 s2, 0x6c
	v_add_co_u32_e64 v196, s[2:3], s2, v186
	s_mov_b32 s2, 0xe8584caa
	v_fma_f64 v[64:65], v[74:75], -0.5, v[64:65]
	v_fma_f64 v[74:75], v[76:77], -0.5, v[52:53]
	;; [unrolled: 1-line block ×3, first 2 shown]
	v_add_f64 v[78:79], v[56:57], -v[48:49]
	s_mov_b32 s3, 0x3febb67a
	s_mov_b32 s5, 0xbfebb67a
	;; [unrolled: 1-line block ×3, first 2 shown]
	v_add_f64 v[80:81], v[72:73], v[60:61]
	v_add_f64 v[82:83], v[58:59], -v[50:51]
	v_add_f64 v[84:85], v[70:71], v[62:63]
	v_add_f64 v[60:61], v[68:69], -v[60:61]
	v_fma_f64 v[88:89], v[78:79], s[4:5], v[76:77]
	v_fma_f64 v[68:69], v[78:79], s[2:3], v[76:77]
	v_add_f64 v[54:55], v[54:55], v[58:59]
	v_add_f64 v[72:73], v[70:71], -v[62:63]
	v_add_f64 v[70:71], v[66:67], v[70:71]
	v_fma_f64 v[90:91], v[82:83], s[4:5], v[74:75]
	v_fma_f64 v[66:67], v[84:85], -0.5, v[66:67]
	v_add_f64 v[52:53], v[52:53], v[56:57]
	v_fma_f64 v[56:57], v[82:83], s[2:3], v[74:75]
	v_mul_f64 v[74:75], v[88:89], s[2:3]
	v_mul_f64 v[58:59], v[68:69], -0.5
	v_add_f64 v[96:97], v[54:55], v[50:51]
	v_add_f64 v[50:51], v[36:37], v[44:45]
	;; [unrolled: 1-line block ×3, first 2 shown]
	v_mul_f64 v[76:77], v[90:91], -0.5
	v_fma_f64 v[92:93], v[60:61], s[4:5], v[66:67]
	v_fma_f64 v[94:95], v[60:61], s[2:3], v[66:67]
	v_add_f64 v[48:49], v[52:53], v[48:49]
	v_fma_f64 v[52:53], v[56:57], 0.5, v[74:75]
	v_mul_f64 v[56:57], v[56:57], s[4:5]
	v_fma_f64 v[90:91], v[90:91], s[4:5], v[58:59]
	v_fma_f64 v[50:51], v[50:51], -0.5, v[28:29]
	v_fma_f64 v[54:55], v[54:55], -0.5, v[30:31]
	v_add_f64 v[58:59], v[36:37], -v[44:45]
	v_add_f64 v[60:61], v[38:39], -v[46:47]
	v_fma_f64 v[86:87], v[72:73], s[2:3], v[64:65]
	v_add_f64 v[82:83], v[70:71], v[62:63]
	v_fma_f64 v[88:89], v[88:89], 0.5, v[56:57]
	v_add_f64 v[56:57], v[32:33], v[40:41]
	v_add_f64 v[62:63], v[34:35], v[42:43]
	v_fma_f64 v[78:79], v[72:73], s[4:5], v[64:65]
	v_fma_f64 v[98:99], v[58:59], s[4:5], v[54:55]
	;; [unrolled: 1-line block ×6, first 2 shown]
	v_add_f64 v[64:65], v[80:81], v[48:49]
	v_add_f64 v[68:69], v[86:87], v[52:53]
	v_add_f64 v[76:77], v[80:81], -v[48:49]
	v_fma_f64 v[56:57], v[56:57], -0.5, v[24:25]
	v_add_f64 v[50:51], v[34:35], -v[42:43]
	v_fma_f64 v[58:59], v[62:63], -0.5, v[26:27]
	v_add_f64 v[62:63], v[32:33], -v[40:41]
	v_add_f64 v[80:81], v[86:87], -v[52:53]
	v_mul_f64 v[52:53], v[98:99], s[2:3]
	v_mul_f64 v[86:87], v[100:101], -0.5
	v_mul_f64 v[102:103], v[60:61], s[4:5]
	v_mul_f64 v[104:105], v[54:55], -0.5
	v_fma_f64 v[48:49], v[50:51], s[2:3], v[56:57]
	v_fma_f64 v[50:51], v[50:51], s[4:5], v[56:57]
	v_fma_f64 v[56:57], v[62:63], s[4:5], v[58:59]
	v_fma_f64 v[58:59], v[62:63], s[2:3], v[58:59]
	v_fma_f64 v[52:53], v[60:61], 0.5, v[52:53]
	v_fma_f64 v[54:55], v[54:55], s[2:3], v[86:87]
	v_fma_f64 v[60:61], v[98:99], 0.5, v[102:103]
	v_fma_f64 v[62:63], v[100:101], s[4:5], v[104:105]
	v_add_f64 v[72:73], v[78:79], v[84:85]
	v_add_f64 v[66:67], v[82:83], v[96:97]
	;; [unrolled: 1-line block ×4, first 2 shown]
	v_add_f64 v[84:85], v[78:79], -v[84:85]
	v_add_f64 v[78:79], v[82:83], -v[96:97]
	;; [unrolled: 1-line block ×8, first 2 shown]
	v_mul_lo_u16_e32 v88, 6, v186
	v_lshl_add_u32 v191, v88, 4, v187
	v_mul_u32_u24_e32 v190, 6, v196
	s_barrier
	ds_write_b128 v191, v[64:67]
	ds_write_b128 v191, v[68:71] offset:16
	ds_write_b128 v191, v[72:75] offset:32
	;; [unrolled: 1-line block ×5, first 2 shown]
	s_and_saveexec_b64 s[2:3], s[0:1]
	s_cbranch_execz .LBB0_7
; %bb.6:
	v_add_f64 v[26:27], v[26:27], v[34:35]
	v_add_f64 v[30:31], v[30:31], v[38:39]
	;; [unrolled: 1-line block ×12, first 2 shown]
	v_add_f64 v[34:35], v[32:33], -v[36:37]
	v_add_f64 v[38:39], v[32:33], v[36:37]
	v_add_f64 v[36:37], v[40:41], v[42:43]
	v_add_f64 v[32:33], v[40:41], -v[42:43]
	v_lshl_add_u32 v40, v190, 4, v187
	ds_write_b128 v40, v[92:95] offset:64
	ds_write_b128 v40, v[28:31] offset:16
	;; [unrolled: 1-line block ×3, first 2 shown]
	ds_write_b128 v40, v[36:39]
	ds_write_b128 v40, v[32:35] offset:48
	ds_write_b128 v40, v[100:103] offset:80
.LBB0_7:
	s_or_b64 exec, exec, s[2:3]
	s_movk_i32 s2, 0xab
	v_mul_lo_u16_sdwa v24, v186, s2 dst_sel:DWORD dst_unused:UNUSED_PAD src0_sel:BYTE_0 src1_sel:DWORD
	v_lshrrev_b16_e32 v154, 10, v24
	v_mul_lo_u16_e32 v24, 6, v154
	v_sub_u16_e32 v24, v186, v24
	v_and_b32_e32 v155, 0xff, v24
	v_mov_b32_e32 v25, s13
	s_movk_i32 s2, 0x90
	v_mov_b32_e32 v24, s12
	v_mad_u64_u32 v[60:61], s[2:3], v155, s2, v[24:25]
	s_waitcnt lgkmcnt(0)
	s_barrier
	global_load_dwordx4 v[40:43], v[60:61], off
	global_load_dwordx4 v[32:35], v[60:61], off offset:16
	global_load_dwordx4 v[28:31], v[60:61], off offset:32
	;; [unrolled: 1-line block ×8, first 2 shown]
	ds_read_b128 v[60:63], v185
	ds_read_b128 v[64:67], v185 offset:1728
	ds_read_b128 v[68:71], v185 offset:3456
	;; [unrolled: 1-line block ×9, first 2 shown]
	s_mov_b32 s2, 0x134454ff
	s_mov_b32 s3, 0x3fee6f0e
	;; [unrolled: 1-line block ×12, first 2 shown]
	s_waitcnt vmcnt(0) lgkmcnt(0)
	s_barrier
	v_mul_f64 v[108:109], v[66:67], v[42:43]
	v_mul_f64 v[112:113], v[70:71], v[34:35]
	;; [unrolled: 1-line block ×15, first 2 shown]
	v_fma_f64 v[68:69], v[68:69], v[32:33], -v[112:113]
	v_fma_f64 v[70:71], v[70:71], v[32:33], v[114:115]
	v_fma_f64 v[76:77], v[76:77], v[24:25], -v[120:121]
	v_fma_f64 v[78:79], v[78:79], v[24:25], v[122:123]
	;; [unrolled: 2-line block ×3, first 2 shown]
	v_fma_f64 v[96:97], v[96:97], v[48:49], -v[136:137]
	v_mul_f64 v[134:135], v[88:89], v[38:39]
	v_mul_f64 v[142:143], v[104:105], v[58:59]
	v_fma_f64 v[64:65], v[64:65], v[40:41], -v[108:109]
	v_fma_f64 v[66:67], v[66:67], v[40:41], v[110:111]
	v_fma_f64 v[72:73], v[72:73], v[28:29], -v[116:117]
	v_fma_f64 v[74:75], v[74:75], v[28:29], v[118:119]
	;; [unrolled: 2-line block ×3, first 2 shown]
	v_fma_f64 v[98:99], v[98:99], v[48:49], v[138:139]
	v_fma_f64 v[88:89], v[88:89], v[36:37], -v[132:133]
	v_add_f64 v[108:109], v[60:61], v[68:69]
	v_add_f64 v[110:111], v[76:77], v[84:85]
	v_add_f64 v[116:117], v[68:69], -v[76:77]
	v_add_f64 v[118:119], v[96:97], -v[84:85]
	v_add_f64 v[120:121], v[68:69], v[96:97]
	v_add_f64 v[126:127], v[62:63], v[70:71]
	;; [unrolled: 1-line block ×3, first 2 shown]
	v_mul_f64 v[140:141], v[106:107], v[58:59]
	v_fma_f64 v[106:107], v[106:107], v[56:57], v[142:143]
	v_add_f64 v[112:113], v[70:71], -v[98:99]
	v_add_f64 v[114:115], v[78:79], -v[86:87]
	v_add_f64 v[122:123], v[76:77], -v[68:69]
	v_add_f64 v[124:125], v[84:85], -v[96:97]
	v_add_f64 v[68:69], v[68:69], -v[96:97]
	v_add_f64 v[130:131], v[76:77], -v[84:85]
	v_add_f64 v[132:133], v[70:71], -v[78:79]
	v_add_f64 v[136:137], v[70:71], v[98:99]
	v_add_f64 v[70:71], v[78:79], -v[70:71]
	v_add_f64 v[142:143], v[80:81], v[88:89]
	v_add_f64 v[76:77], v[108:109], v[76:77]
	v_fma_f64 v[108:109], v[110:111], -0.5, v[60:61]
	v_add_f64 v[110:111], v[116:117], v[118:119]
	v_fma_f64 v[60:61], v[120:121], -0.5, v[60:61]
	;; [unrolled: 2-line block ×3, first 2 shown]
	v_fma_f64 v[90:91], v[90:91], v[36:37], v[134:135]
	v_fma_f64 v[104:105], v[104:105], v[56:57], -v[140:141]
	v_add_f64 v[134:135], v[98:99], -v[86:87]
	v_add_f64 v[138:139], v[86:87], -v[98:99]
	v_add_f64 v[140:141], v[64:65], v[72:73]
	v_add_f64 v[144:145], v[74:75], -v[106:107]
	v_add_f64 v[116:117], v[122:123], v[124:125]
	v_fma_f64 v[62:63], v[136:137], -0.5, v[62:63]
	v_fma_f64 v[124:125], v[142:143], -0.5, v[64:65]
	v_add_f64 v[76:77], v[76:77], v[84:85]
	v_fma_f64 v[84:85], v[112:113], s[2:3], v[108:109]
	v_fma_f64 v[126:127], v[114:115], s[18:19], v[60:61]
	;; [unrolled: 1-line block ×3, first 2 shown]
	v_add_f64 v[78:79], v[78:79], v[86:87]
	v_fma_f64 v[86:87], v[68:69], s[18:19], v[118:119]
	v_fma_f64 v[118:119], v[68:69], s[2:3], v[118:119]
	v_add_f64 v[146:147], v[82:83], -v[90:91]
	v_add_f64 v[148:149], v[72:73], -v[80:81]
	;; [unrolled: 1-line block ×3, first 2 shown]
	v_add_f64 v[152:153], v[72:73], v[104:105]
	v_add_f64 v[120:121], v[132:133], v[134:135]
	;; [unrolled: 1-line block ×3, first 2 shown]
	v_fma_f64 v[108:109], v[112:113], s[18:19], v[108:109]
	v_fma_f64 v[128:129], v[130:131], s[2:3], v[62:63]
	;; [unrolled: 1-line block ×4, first 2 shown]
	v_add_f64 v[96:97], v[76:77], v[96:97]
	v_fma_f64 v[76:77], v[114:115], s[4:5], v[84:85]
	v_fma_f64 v[60:61], v[112:113], s[20:21], v[60:61]
	v_add_f64 v[98:99], v[78:79], v[98:99]
	v_fma_f64 v[78:79], v[130:131], s[4:5], v[118:119]
	v_fma_f64 v[84:85], v[114:115], s[20:21], v[108:109]
	v_fma_f64 v[108:109], v[112:113], s[4:5], v[126:127]
	v_fma_f64 v[86:87], v[130:131], s[20:21], v[86:87]
	v_fma_f64 v[112:113], v[68:69], s[20:21], v[128:129]
	v_fma_f64 v[114:115], v[110:111], s[16:17], v[76:77]
	v_fma_f64 v[118:119], v[116:117], s[16:17], v[60:61]
	v_add_f64 v[60:61], v[70:71], v[138:139]
	v_fma_f64 v[126:127], v[120:121], s[16:17], v[78:79]
	v_fma_f64 v[64:65], v[152:153], -0.5, v[64:65]
	v_fma_f64 v[62:63], v[68:69], s[4:5], v[62:63]
	v_add_f64 v[68:69], v[122:123], v[88:89]
	v_fma_f64 v[70:71], v[146:147], s[4:5], v[132:133]
	v_add_f64 v[76:77], v[148:149], v[150:151]
	v_add_f64 v[78:79], v[82:83], v[90:91]
	v_fma_f64 v[84:85], v[110:111], s[16:17], v[84:85]
	v_fma_f64 v[110:111], v[116:117], s[16:17], v[108:109]
	;; [unrolled: 1-line block ×7, first 2 shown]
	v_add_f64 v[120:121], v[68:69], v[104:105]
	v_add_f64 v[60:61], v[74:75], v[106:107]
	v_fma_f64 v[62:63], v[76:77], s[16:17], v[70:71]
	v_fma_f64 v[68:69], v[78:79], -0.5, v[66:67]
	v_add_f64 v[70:71], v[72:73], -v[104:105]
	v_fma_f64 v[78:79], v[146:147], s[20:21], v[108:109]
	v_fma_f64 v[108:109], v[144:145], s[4:5], v[116:117]
	v_add_f64 v[116:117], v[66:67], v[74:75]
	v_add_f64 v[124:125], v[80:81], -v[88:89]
	v_fma_f64 v[60:61], v[60:61], -0.5, v[66:67]
	v_add_f64 v[66:67], v[80:81], -v[72:73]
	v_add_f64 v[72:73], v[88:89], -v[104:105]
	v_fma_f64 v[80:81], v[70:71], s[18:19], v[68:69]
	v_add_f64 v[88:89], v[74:75], -v[82:83]
	v_add_f64 v[104:105], v[106:107], -v[90:91]
	v_fma_f64 v[64:65], v[146:147], s[2:3], v[64:65]
	v_fma_f64 v[68:69], v[70:71], s[2:3], v[68:69]
	v_add_f64 v[116:117], v[116:117], v[82:83]
	v_fma_f64 v[128:129], v[124:125], s[2:3], v[60:61]
	v_add_f64 v[74:75], v[82:83], -v[74:75]
	v_fma_f64 v[80:81], v[124:125], s[20:21], v[80:81]
	v_add_f64 v[82:83], v[90:91], -v[106:107]
	v_add_f64 v[88:89], v[88:89], v[104:105]
	v_fma_f64 v[60:61], v[124:125], s[18:19], v[60:61]
	v_add_f64 v[66:67], v[66:67], v[72:73]
	v_fma_f64 v[64:65], v[144:145], s[20:21], v[64:65]
	v_fma_f64 v[68:69], v[124:125], s[4:5], v[68:69]
	;; [unrolled: 1-line block ×3, first 2 shown]
	v_add_f64 v[74:75], v[74:75], v[82:83]
	v_fma_f64 v[80:81], v[88:89], s[16:17], v[80:81]
	v_fma_f64 v[60:61], v[70:71], s[4:5], v[60:61]
	;; [unrolled: 1-line block ×6, first 2 shown]
	v_add_f64 v[82:83], v[116:117], v[90:91]
	v_fma_f64 v[72:73], v[74:75], s[16:17], v[72:73]
	v_mul_f64 v[68:69], v[80:81], s[4:5]
	v_fma_f64 v[74:75], v[74:75], s[16:17], v[60:61]
	v_mul_f64 v[90:91], v[70:71], s[22:23]
	v_add_f64 v[60:61], v[96:97], v[120:121]
	v_mul_f64 v[88:89], v[66:67], s[16:17]
	v_mul_f64 v[108:109], v[64:65], s[22:23]
	v_add_f64 v[82:83], v[82:83], v[106:107]
	v_mul_f64 v[78:79], v[72:73], s[2:3]
	v_fma_f64 v[104:105], v[62:63], s[22:23], v[68:69]
	v_mul_f64 v[62:63], v[62:63], s[20:21]
	v_mul_f64 v[68:69], v[76:77], s[18:19]
	;; [unrolled: 1-line block ×3, first 2 shown]
	v_fma_f64 v[88:89], v[74:75], s[2:3], -v[88:89]
	v_fma_f64 v[90:91], v[64:65], s[4:5], -v[90:91]
	;; [unrolled: 1-line block ×3, first 2 shown]
	v_fma_f64 v[116:117], v[76:77], s[16:17], v[78:79]
	v_add_f64 v[64:65], v[114:115], v[104:105]
	v_fma_f64 v[128:129], v[80:81], s[22:23], v[62:63]
	v_fma_f64 v[130:131], v[72:73], s[16:17], v[68:69]
	v_fma_f64 v[106:107], v[66:67], s[18:19], -v[106:107]
	v_add_f64 v[62:63], v[98:99], v[82:83]
	v_add_f64 v[72:73], v[118:119], v[88:89]
	;; [unrolled: 1-line block ×8, first 2 shown]
	v_add_f64 v[80:81], v[96:97], -v[120:121]
	v_add_f64 v[124:125], v[84:85], -v[90:91]
	;; [unrolled: 1-line block ×3, first 2 shown]
	v_mul_u32_u24_e32 v84, 60, v154
	v_add_f64 v[108:109], v[114:115], -v[104:105]
	v_add_f64 v[116:117], v[110:111], -v[116:117]
	;; [unrolled: 1-line block ×3, first 2 shown]
	v_add_u32_e32 v84, v84, v155
	v_add_f64 v[120:121], v[118:119], -v[88:89]
	v_add_f64 v[118:119], v[112:113], -v[130:131]
	v_lshl_add_u32 v192, v84, 4, v187
	v_add_f64 v[122:123], v[122:123], -v[106:107]
	v_add_f64 v[126:127], v[126:127], -v[132:133]
	ds_write_b128 v192, v[60:63]
	ds_write_b128 v192, v[64:67] offset:96
	ds_write_b128 v192, v[68:71] offset:192
	ds_write_b128 v192, v[72:75] offset:288
	ds_write_b128 v192, v[76:79] offset:384
	ds_write_b128 v192, v[80:83] offset:480
	ds_write_b128 v192, v[108:111] offset:576
	ds_write_b128 v192, v[116:119] offset:672
	ds_write_b128 v192, v[120:123] offset:768
	ds_write_b128 v192, v[124:127] offset:864
	s_waitcnt lgkmcnt(0)
	s_barrier
	ds_read_b128 v[112:115], v185
	ds_read_b128 v[144:147], v185 offset:2880
	ds_read_b128 v[140:143], v185 offset:5760
	;; [unrolled: 1-line block ×5, first 2 shown]
	s_and_saveexec_b64 s[2:3], s[0:1]
	s_cbranch_execz .LBB0_9
; %bb.8:
	ds_read_b128 v[108:111], v185 offset:1728
	ds_read_b128 v[116:119], v185 offset:4608
	;; [unrolled: 1-line block ×6, first 2 shown]
.LBB0_9:
	s_or_b64 exec, exec, s[2:3]
	v_subrev_u32_e32 v60, 60, v186
	v_cmp_gt_u16_e64 s[2:3], 60, v186
	v_cndmask_b32_e64 v194, v60, v186, s[2:3]
	v_mul_i32_i24_e32 v61, 0x50, v194
	v_mul_hi_i32_i24_e32 v60, 0x50, v194
	v_mov_b32_e32 v62, s13
	v_add_co_u32_e64 v68, s[2:3], s12, v61
	v_addc_co_u32_e64 v69, s[2:3], v62, v60, s[2:3]
	s_movk_i32 s2, 0x89
	v_mul_lo_u16_sdwa v70, v196, s2 dst_sel:DWORD dst_unused:UNUSED_PAD src0_sel:BYTE_0 src1_sel:DWORD
	v_lshrrev_b16_e32 v188, 13, v70
	v_mul_lo_u16_e32 v70, 60, v188
	v_sub_u16_e32 v70, v196, v70
	global_load_dwordx4 v[60:63], v[68:69], off offset:912
	global_load_dwordx4 v[64:67], v[68:69], off offset:896
	;; [unrolled: 1-line block ×4, first 2 shown]
	v_and_b32_e32 v189, 0xff, v70
	v_mov_b32_e32 v71, s13
	s_movk_i32 s4, 0x50
	v_mov_b32_e32 v70, s12
	v_mad_u64_u32 v[70:71], s[2:3], v189, s4, v[70:71]
	global_load_dwordx4 v[88:91], v[68:69], off offset:928
	global_load_dwordx4 v[104:107], v[70:71], off offset:864
	global_load_dwordx4 v[96:99], v[70:71], off offset:880
	global_load_dwordx4 v[84:87], v[70:71], off offset:896
	global_load_dwordx4 v[80:83], v[70:71], off offset:912
	s_nop 0
	global_load_dwordx4 v[68:71], v[70:71], off offset:928
	s_mov_b32 s2, 0xe8584caa
	s_mov_b32 s3, 0x3febb67a
	;; [unrolled: 1-line block ×4, first 2 shown]
	s_waitcnt vmcnt(0) lgkmcnt(0)
	s_barrier
	v_mul_f64 v[160:161], v[134:135], v[62:63]
	v_mul_f64 v[156:157], v[138:139], v[66:67]
	;; [unrolled: 1-line block ×13, first 2 shown]
	v_fma_f64 v[146:147], v[146:147], v[76:77], v[150:151]
	v_fma_f64 v[140:141], v[140:141], v[72:73], -v[152:153]
	v_fma_f64 v[142:143], v[142:143], v[72:73], v[154:155]
	v_fma_f64 v[136:137], v[136:137], v[64:65], -v[156:157]
	v_fma_f64 v[138:139], v[138:139], v[64:65], v[158:159]
	v_fma_f64 v[132:133], v[132:133], v[60:61], -v[160:161]
	v_fma_f64 v[134:135], v[134:135], v[60:61], v[162:163]
	v_fma_f64 v[128:129], v[128:129], v[88:89], -v[164:165]
	v_fma_f64 v[130:131], v[130:131], v[88:89], v[166:167]
	v_mul_f64 v[172:173], v[122:123], v[98:99]
	v_mul_f64 v[174:175], v[120:121], v[98:99]
	;; [unrolled: 1-line block ×5, first 2 shown]
	v_fma_f64 v[144:145], v[144:145], v[76:77], -v[148:149]
	v_fma_f64 v[148:149], v[124:125], v[84:85], -v[176:177]
	v_fma_f64 v[156:157], v[126:127], v[84:85], v[178:179]
	v_fma_f64 v[162:163], v[100:101], v[68:69], -v[199:200]
	v_add_f64 v[100:101], v[140:141], v[132:133]
	v_add_f64 v[124:125], v[114:115], v[142:143]
	;; [unrolled: 1-line block ×4, first 2 shown]
	v_add_f64 v[152:153], v[138:139], -v[130:131]
	v_add_f64 v[154:155], v[146:147], v[138:139]
	v_add_f64 v[138:139], v[138:139], v[130:131]
	v_mul_f64 v[168:169], v[118:119], v[106:107]
	v_mul_f64 v[170:171], v[116:117], v[106:107]
	v_fma_f64 v[120:121], v[120:121], v[96:97], -v[172:173]
	v_fma_f64 v[122:123], v[122:123], v[96:97], v[174:175]
	v_fma_f64 v[92:93], v[92:93], v[80:81], -v[180:181]
	v_fma_f64 v[160:161], v[94:95], v[80:81], v[197:198]
	v_fma_f64 v[164:165], v[102:103], v[68:69], v[201:202]
	v_add_f64 v[94:95], v[112:113], v[140:141]
	v_add_f64 v[102:103], v[142:143], -v[134:135]
	v_add_f64 v[142:143], v[144:145], v[136:137]
	v_add_f64 v[136:137], v[136:137], -v[128:129]
	v_fma_f64 v[100:101], v[100:101], -0.5, v[112:113]
	v_add_f64 v[112:113], v[124:125], v[134:135]
	v_fma_f64 v[114:115], v[126:127], -0.5, v[114:115]
	v_fma_f64 v[124:125], v[150:151], -0.5, v[144:145]
	;; [unrolled: 1-line block ×3, first 2 shown]
	v_fma_f64 v[116:117], v[116:117], v[104:105], -v[168:169]
	v_fma_f64 v[118:119], v[118:119], v[104:105], v[170:171]
	v_add_f64 v[140:141], v[140:141], -v[132:133]
	v_add_f64 v[166:167], v[120:121], v[92:93]
	v_add_f64 v[168:169], v[122:123], -v[160:161]
	v_add_f64 v[170:171], v[110:111], v[122:123]
	v_add_f64 v[122:123], v[122:123], v[160:161]
	;; [unrolled: 1-line block ×5, first 2 shown]
	v_fma_f64 v[134:135], v[136:137], s[4:5], v[126:127]
	v_fma_f64 v[142:143], v[152:153], s[4:5], v[124:125]
	v_add_f64 v[158:159], v[108:109], v[120:121]
	v_add_f64 v[174:175], v[156:157], -v[164:165]
	v_add_f64 v[178:179], v[148:149], -v[162:163]
	v_add_f64 v[94:95], v[94:95], v[132:133]
	v_add_f64 v[130:131], v[154:155], v[130:131]
	v_fma_f64 v[108:109], v[166:167], -0.5, v[108:109]
	v_fma_f64 v[110:111], v[122:123], -0.5, v[110:111]
	;; [unrolled: 1-line block ×4, first 2 shown]
	v_fma_f64 v[144:145], v[152:153], s[2:3], v[124:125]
	v_fma_f64 v[136:137], v[136:137], s[2:3], v[126:127]
	;; [unrolled: 1-line block ×4, first 2 shown]
	v_mul_f64 v[114:115], v[134:135], s[2:3]
	v_mul_f64 v[150:151], v[142:143], -0.5
	v_fma_f64 v[138:139], v[102:103], s[2:3], v[100:101]
	v_fma_f64 v[102:103], v[102:103], s[4:5], v[100:101]
	v_add_f64 v[124:125], v[94:95], v[128:129]
	v_add_f64 v[126:127], v[112:113], v[130:131]
	v_mul_f64 v[152:153], v[144:145], s[4:5]
	v_mul_f64 v[154:155], v[136:137], -0.5
	v_add_f64 v[128:129], v[94:95], -v[128:129]
	v_add_f64 v[130:131], v[112:113], -v[130:131]
	v_fma_f64 v[94:95], v[168:169], s[2:3], v[108:109]
	v_fma_f64 v[100:101], v[168:169], s[4:5], v[108:109]
	v_fma_f64 v[108:109], v[144:145], 0.5, v[114:115]
	v_fma_f64 v[112:113], v[136:137], s[2:3], v[150:151]
	v_fma_f64 v[144:145], v[174:175], s[2:3], v[122:123]
	;; [unrolled: 1-line block ×5, first 2 shown]
	v_add_f64 v[120:121], v[120:121], -v[92:93]
	v_add_f64 v[92:93], v[158:159], v[92:93]
	v_fma_f64 v[142:143], v[142:143], s[4:5], v[154:155]
	v_add_f64 v[132:133], v[138:139], v[108:109]
	v_add_f64 v[150:151], v[102:103], v[112:113]
	v_add_f64 v[154:155], v[138:139], -v[108:109]
	v_add_f64 v[158:159], v[102:103], -v[112:113]
	v_add_f64 v[108:109], v[116:117], v[148:149]
	v_mul_f64 v[112:113], v[166:167], s[2:3]
	v_mul_f64 v[116:117], v[122:123], -0.5
	v_add_f64 v[138:139], v[118:119], v[156:157]
	v_mul_f64 v[148:149], v[144:145], s[4:5]
	v_mul_f64 v[156:157], v[168:169], -0.5
	v_fma_f64 v[136:137], v[134:135], 0.5, v[152:153]
	v_add_f64 v[102:103], v[170:171], v[160:161]
	v_fma_f64 v[114:115], v[120:121], s[4:5], v[110:111]
	v_fma_f64 v[118:119], v[120:121], s[2:3], v[110:111]
	v_add_f64 v[108:109], v[108:109], v[162:163]
	v_fma_f64 v[110:111], v[144:145], 0.5, v[112:113]
	v_fma_f64 v[112:113], v[168:169], s[2:3], v[116:117]
	v_add_f64 v[116:117], v[138:139], v[164:165]
	v_fma_f64 v[120:121], v[166:167], 0.5, v[148:149]
	v_fma_f64 v[122:123], v[122:123], s[4:5], v[156:157]
	v_add_f64 v[134:135], v[146:147], v[136:137]
	v_add_f64 v[152:153], v[140:141], v[142:143]
	v_add_f64 v[156:157], v[146:147], -v[136:137]
	v_add_f64 v[160:161], v[140:141], -v[142:143]
	;; [unrolled: 1-line block ×8, first 2 shown]
	v_mov_b32_e32 v140, 0x168
	v_cmp_lt_u16_e64 s[2:3], 59, v186
	v_cndmask_b32_e64 v140, 0, v140, s[2:3]
	v_add_u32_e32 v140, v194, v140
	v_lshl_add_u32 v194, v140, 4, v187
	ds_write_b128 v194, v[124:127]
	ds_write_b128 v194, v[132:135] offset:960
	ds_write_b128 v194, v[150:153] offset:1920
	;; [unrolled: 1-line block ×5, first 2 shown]
	s_and_saveexec_b64 s[2:3], s[0:1]
	s_cbranch_execz .LBB0_11
; %bb.10:
	v_add_f64 v[126:127], v[102:103], v[116:117]
	v_add_f64 v[124:125], v[92:93], v[108:109]
	;; [unrolled: 1-line block ×6, first 2 shown]
	v_mul_u32_u24_e32 v92, 0x168, v188
	v_add_u32_e32 v92, v92, v189
	v_lshl_add_u32 v92, v92, 4, v187
	ds_write_b128 v92, v[124:127]
	ds_write_b128 v92, v[120:123] offset:960
	ds_write_b128 v92, v[116:119] offset:1920
	;; [unrolled: 1-line block ×5, first 2 shown]
.LBB0_11:
	s_or_b64 exec, exec, s[2:3]
	s_waitcnt lgkmcnt(0)
	s_barrier
	ds_read_b128 v[154:157], v185
	ds_read_b128 v[150:153], v185 offset:1728
	ds_read_b128 v[170:173], v185 offset:11520
	;; [unrolled: 1-line block ×8, first 2 shown]
	v_cmp_gt_u16_e64 s[2:3], 36, v186
	s_and_saveexec_b64 s[4:5], s[2:3]
	s_cbranch_execz .LBB0_13
; %bb.12:
	ds_read_b128 v[142:145], v185 offset:5184
	ds_read_b128 v[136:139], v185 offset:10944
	;; [unrolled: 1-line block ×3, first 2 shown]
.LBB0_13:
	s_or_b64 exec, exec, s[4:5]
	s_movk_i32 s4, 0x144
	v_add_co_u32_e64 v101, s[4:5], s4, v186
	v_lshlrev_b32_e32 v100, 5, v186
	v_addc_co_u32_e64 v102, s[4:5], 0, 0, s[4:5]
	v_mov_b32_e32 v103, s13
	v_add_co_u32_e64 v94, s[4:5], s12, v100
	v_addc_co_u32_e64 v95, s[4:5], 0, v103, s[4:5]
	s_movk_i32 s6, 0x1620
	v_add_co_u32_e64 v92, s[4:5], s6, v94
	v_addc_co_u32_e64 v93, s[4:5], 0, v95, s[4:5]
	s_movk_i32 s13, 0x1000
	v_add_co_u32_e64 v94, s[4:5], s13, v94
	v_addc_co_u32_e64 v95, s[4:5], 0, v95, s[4:5]
	global_load_dwordx4 v[108:111], v[94:95], off offset:1568
	global_load_dwordx4 v[112:115], v[92:93], off offset:16
	v_lshlrev_b32_e32 v92, 5, v196
	v_add_co_u32_e64 v94, s[4:5], s12, v92
	v_addc_co_u32_e64 v95, s[4:5], 0, v103, s[4:5]
	v_add_co_u32_e64 v92, s[4:5], s6, v94
	v_addc_co_u32_e64 v93, s[4:5], 0, v95, s[4:5]
	;; [unrolled: 2-line block ×3, first 2 shown]
	global_load_dwordx4 v[116:119], v[94:95], off offset:1568
	global_load_dwordx4 v[120:123], v[92:93], off offset:16
	v_add_u32_e32 v92, 0x1b00, v100
	v_add_co_u32_e64 v94, s[4:5], s12, v92
	v_addc_co_u32_e64 v95, s[4:5], 0, v103, s[4:5]
	v_add_co_u32_e64 v92, s[4:5], s6, v94
	v_addc_co_u32_e64 v93, s[4:5], 0, v95, s[4:5]
	;; [unrolled: 2-line block ×3, first 2 shown]
	s_movk_i32 s4, 0xffdc
	global_load_dwordx4 v[128:131], v[94:95], off offset:1568
	global_load_dwordx4 v[124:127], v[92:93], off offset:16
	v_add_co_u32_e64 v92, s[4:5], s4, v186
	v_addc_co_u32_e64 v93, s[4:5], 0, -1, s[4:5]
	v_cndmask_b32_e64 v93, v93, v102, s[2:3]
	v_cndmask_b32_e64 v92, v92, v101, s[2:3]
	v_lshlrev_b64 v[92:93], 5, v[92:93]
	v_add_co_u32_e64 v100, s[4:5], s12, v92
	v_addc_co_u32_e64 v101, s[4:5], v103, v93, s[4:5]
	v_add_co_u32_e64 v92, s[4:5], s13, v100
	v_addc_co_u32_e64 v93, s[4:5], 0, v101, s[4:5]
	;; [unrolled: 2-line block ×3, first 2 shown]
	global_load_dwordx4 v[92:95], v[92:93], off offset:1568
	s_mov_b32 s4, 0xe8584caa
	global_load_dwordx4 v[100:103], v[100:101], off offset:16
	s_mov_b32 s5, 0x3febb67a
	s_mov_b32 s13, 0xbfebb67a
	;; [unrolled: 1-line block ×3, first 2 shown]
	s_waitcnt vmcnt(7) lgkmcnt(4)
	v_mul_f64 v[140:141], v[180:181], v[110:111]
	s_waitcnt vmcnt(6)
	v_mul_f64 v[198:199], v[172:173], v[114:115]
	v_mul_f64 v[196:197], v[178:179], v[110:111]
	;; [unrolled: 1-line block ×3, first 2 shown]
	v_fma_f64 v[140:141], v[178:179], v[108:109], -v[140:141]
	v_fma_f64 v[170:171], v[170:171], v[112:113], -v[198:199]
	v_fma_f64 v[180:181], v[180:181], v[108:109], v[196:197]
	v_fma_f64 v[172:173], v[172:173], v[112:113], v[200:201]
	s_waitcnt vmcnt(5) lgkmcnt(2)
	v_mul_f64 v[202:203], v[176:177], v[118:119]
	s_waitcnt vmcnt(4)
	v_mul_f64 v[206:207], v[168:169], v[122:123]
	v_mul_f64 v[204:205], v[174:175], v[118:119]
	;; [unrolled: 1-line block ×3, first 2 shown]
	v_fma_f64 v[174:175], v[174:175], v[116:117], -v[202:203]
	v_fma_f64 v[196:197], v[166:167], v[120:121], -v[206:207]
	v_add_f64 v[166:167], v[140:141], v[170:171]
	v_fma_f64 v[176:177], v[176:177], v[116:117], v[204:205]
	v_fma_f64 v[198:199], v[168:169], v[120:121], v[208:209]
	s_waitcnt vmcnt(3) lgkmcnt(1)
	v_mul_f64 v[210:211], v[164:165], v[130:131]
	s_waitcnt vmcnt(2) lgkmcnt(0)
	v_mul_f64 v[214:215], v[160:161], v[126:127]
	v_mul_f64 v[212:213], v[162:163], v[130:131]
	;; [unrolled: 1-line block ×3, first 2 shown]
	v_fma_f64 v[200:201], v[162:163], v[128:129], -v[210:211]
	v_fma_f64 v[204:205], v[158:159], v[124:125], -v[214:215]
	v_add_f64 v[158:159], v[154:155], v[140:141]
	v_fma_f64 v[202:203], v[164:165], v[128:129], v[212:213]
	v_fma_f64 v[206:207], v[160:161], v[124:125], v[216:217]
	v_add_f64 v[160:161], v[156:157], v[180:181]
	v_add_f64 v[164:165], v[174:175], v[196:197]
	v_add_f64 v[140:141], v[140:141], -v[170:171]
	v_add_f64 v[158:159], v[158:159], v[170:171]
	v_add_f64 v[160:161], v[160:161], v[172:173]
	s_waitcnt vmcnt(1)
	v_mul_f64 v[218:219], v[138:139], v[94:95]
	v_mul_f64 v[220:221], v[136:137], v[94:95]
	s_waitcnt vmcnt(0)
	v_mul_f64 v[178:179], v[146:147], v[102:103]
	v_mul_f64 v[222:223], v[148:149], v[102:103]
	v_fma_f64 v[208:209], v[136:137], v[92:93], -v[218:219]
	v_fma_f64 v[136:137], v[166:167], -0.5, v[154:155]
	v_add_f64 v[154:155], v[180:181], -v[172:173]
	v_fma_f64 v[210:211], v[148:149], v[100:101], v[178:179]
	v_add_f64 v[148:149], v[180:181], v[172:173]
	v_fma_f64 v[138:139], v[138:139], v[92:93], v[220:221]
	v_fma_f64 v[146:147], v[146:147], v[100:101], -v[222:223]
	v_add_f64 v[172:173], v[200:201], v[204:205]
	v_fma_f64 v[162:163], v[154:155], s[4:5], v[136:137]
	v_fma_f64 v[166:167], v[154:155], s[12:13], v[136:137]
	v_fma_f64 v[148:149], v[148:149], -0.5, v[156:157]
	v_add_f64 v[136:137], v[176:177], v[198:199]
	v_add_f64 v[154:155], v[150:151], v[174:175]
	v_fma_f64 v[150:151], v[164:165], -0.5, v[150:151]
	v_add_f64 v[156:157], v[176:177], -v[198:199]
	v_fma_f64 v[164:165], v[140:141], s[12:13], v[148:149]
	v_fma_f64 v[168:169], v[140:141], s[4:5], v[148:149]
	v_add_f64 v[140:141], v[152:153], v[176:177]
	v_fma_f64 v[136:137], v[136:137], -0.5, v[152:153]
	v_add_f64 v[148:149], v[174:175], -v[196:197]
	v_add_f64 v[152:153], v[132:133], v[200:201]
	v_add_f64 v[170:171], v[154:155], v[196:197]
	v_fma_f64 v[174:175], v[156:157], s[4:5], v[150:151]
	v_fma_f64 v[154:155], v[172:173], -0.5, v[132:133]
	v_add_f64 v[196:197], v[202:203], -v[206:207]
	v_fma_f64 v[178:179], v[156:157], s[12:13], v[150:151]
	v_add_f64 v[150:151], v[202:203], v[206:207]
	v_fma_f64 v[176:177], v[148:149], s[12:13], v[136:137]
	v_fma_f64 v[180:181], v[148:149], s[4:5], v[136:137]
	v_add_f64 v[132:133], v[152:153], v[204:205]
	v_add_f64 v[148:149], v[208:209], v[146:147]
	;; [unrolled: 1-line block ×4, first 2 shown]
	v_fma_f64 v[136:137], v[196:197], s[4:5], v[154:155]
	v_fma_f64 v[140:141], v[196:197], s[12:13], v[154:155]
	v_add_f64 v[154:155], v[134:135], v[202:203]
	v_fma_f64 v[150:151], v[150:151], -0.5, v[134:135]
	v_add_f64 v[156:157], v[200:201], -v[204:205]
	v_add_f64 v[196:197], v[142:143], v[208:209]
	v_fma_f64 v[198:199], v[148:149], -0.5, v[142:143]
	v_add_f64 v[200:201], v[138:139], -v[210:211]
	;; [unrolled: 3-line block ×3, first 2 shown]
	v_add_f64 v[134:135], v[154:155], v[206:207]
	v_fma_f64 v[138:139], v[156:157], s[12:13], v[150:151]
	v_fma_f64 v[142:143], v[156:157], s[4:5], v[150:151]
	v_add_f64 v[148:149], v[196:197], v[146:147]
	v_fma_f64 v[144:145], v[200:201], s[4:5], v[198:199]
	v_fma_f64 v[152:153], v[200:201], s[12:13], v[198:199]
	v_add_f64 v[150:151], v[202:203], v[210:211]
	v_fma_f64 v[146:147], v[208:209], s[12:13], v[204:205]
	v_fma_f64 v[154:155], v[208:209], s[4:5], v[204:205]
	ds_write_b128 v185, v[158:161]
	ds_write_b128 v185, v[162:165] offset:5760
	ds_write_b128 v185, v[166:169] offset:11520
	;; [unrolled: 1-line block ×5, first 2 shown]
	v_lshl_add_u32 v180, v195, 4, v193
	ds_write_b128 v185, v[132:135] offset:3456
	ds_write_b128 v180, v[136:139] offset:9216
	;; [unrolled: 1-line block ×3, first 2 shown]
	s_and_saveexec_b64 s[4:5], s[2:3]
	s_cbranch_execz .LBB0_15
; %bb.14:
	ds_write_b128 v185, v[148:151] offset:5184
	ds_write_b128 v185, v[144:147] offset:10944
	;; [unrolled: 1-line block ×3, first 2 shown]
.LBB0_15:
	s_or_b64 exec, exec, s[4:5]
	v_mov_b32_e32 v156, s7
	v_addc_co_u32_e32 v178, vcc, 0, v156, vcc
	s_movk_i32 s4, 0x4380
	v_add_co_u32_e32 v156, vcc, s4, v182
	s_movk_i32 s6, 0x4000
	s_mov_b64 s[4:5], vcc
	v_add_co_u32_e32 v174, vcc, s6, v182
	s_movk_i32 s6, 0x5000
	v_add_co_u32_e64 v157, s[6:7], s6, v182
	v_addc_co_u32_e64 v158, s[6:7], 0, v178, s[6:7]
	s_movk_i32 s6, 0x6000
	v_add_co_u32_e64 v162, s[6:7], s6, v182
	v_addc_co_u32_e64 v163, s[6:7], 0, v178, s[6:7]
	s_movk_i32 s6, 0x7000
	v_add_co_u32_e64 v170, s[6:7], s6, v182
	s_waitcnt lgkmcnt(0)
	s_barrier
	global_load_dwordx4 v[158:161], v[157:158], off offset:2560
	s_nop 0
	global_load_dwordx4 v[162:165], v[162:163], off offset:1344
	v_addc_co_u32_e64 v171, s[6:7], 0, v178, s[6:7]
	global_load_dwordx4 v[166:169], v[170:171], off offset:128
	v_addc_co_u32_e32 v175, vcc, 0, v178, vcc
	global_load_dwordx4 v[170:173], v[170:171], off offset:3008
	s_nop 0
	global_load_dwordx4 v[174:177], v[174:175], off offset:896
	v_addc_co_u32_e64 v157, vcc, 0, v178, s[4:5]
	global_load_dwordx4 v[195:198], v[156:157], off offset:2880
	ds_read_b128 v[199:202], v185 offset:5760
	ds_read_b128 v[203:206], v185
	ds_read_b128 v[207:210], v185 offset:2880
	ds_read_b128 v[211:214], v185 offset:8640
	;; [unrolled: 1-line block ×4, first 2 shown]
	s_waitcnt vmcnt(5) lgkmcnt(5)
	v_mul_f64 v[178:179], v[201:202], v[160:161]
	v_mul_f64 v[160:161], v[199:200], v[160:161]
	s_waitcnt vmcnt(4) lgkmcnt(2)
	v_mul_f64 v[223:224], v[213:214], v[164:165]
	v_mul_f64 v[164:165], v[211:212], v[164:165]
	;; [unrolled: 3-line block ×4, first 2 shown]
	s_waitcnt vmcnt(1)
	v_mul_f64 v[172:173], v[205:206], v[176:177]
	v_mul_f64 v[231:232], v[203:204], v[176:177]
	s_waitcnt vmcnt(0)
	v_mul_f64 v[233:234], v[209:210], v[197:198]
	v_mul_f64 v[235:236], v[207:208], v[197:198]
	v_fma_f64 v[176:177], v[199:200], v[158:159], -v[178:179]
	v_fma_f64 v[178:179], v[201:202], v[158:159], v[160:161]
	v_fma_f64 v[158:159], v[211:212], v[162:163], -v[223:224]
	v_fma_f64 v[160:161], v[213:214], v[162:163], v[164:165]
	;; [unrolled: 2-line block ×6, first 2 shown]
	ds_write_b128 v185, v[176:179] offset:5760
	ds_write_b128 v185, v[158:161] offset:8640
	;; [unrolled: 1-line block ×3, first 2 shown]
	ds_write_b128 v185, v[172:175]
	ds_write_b128 v185, v[197:200] offset:2880
	ds_write_b128 v185, v[166:169] offset:14400
	s_and_saveexec_b64 s[4:5], s[0:1]
	s_cbranch_execz .LBB0_17
; %bb.16:
	s_movk_i32 s6, 0x1000
	v_add_co_u32_e32 v166, vcc, s6, v156
	v_addc_co_u32_e32 v167, vcc, 0, v157, vcc
	s_movk_i32 s6, 0x2000
	global_load_dwordx4 v[158:161], v[156:157], off offset:1728
	global_load_dwordx4 v[162:165], v[166:167], off offset:512
	v_add_co_u32_e32 v170, vcc, s6, v156
	v_addc_co_u32_e32 v171, vcc, 0, v157, vcc
	s_movk_i32 s6, 0x3000
	global_load_dwordx4 v[166:169], v[166:167], off offset:3392
	s_nop 0
	global_load_dwordx4 v[170:173], v[170:171], off offset:2176
	v_add_co_u32_e32 v156, vcc, s6, v156
	v_addc_co_u32_e32 v157, vcc, 0, v157, vcc
	global_load_dwordx4 v[174:177], v[156:157], off offset:960
	global_load_dwordx4 v[195:198], v[156:157], off offset:3840
	ds_read_b128 v[199:202], v185 offset:1728
	ds_read_b128 v[203:206], v185 offset:4608
	;; [unrolled: 1-line block ×6, first 2 shown]
	s_waitcnt vmcnt(5) lgkmcnt(5)
	v_mul_f64 v[156:157], v[201:202], v[160:161]
	v_mul_f64 v[160:161], v[199:200], v[160:161]
	s_waitcnt vmcnt(4) lgkmcnt(4)
	v_mul_f64 v[178:179], v[205:206], v[164:165]
	v_mul_f64 v[164:165], v[203:204], v[164:165]
	;; [unrolled: 3-line block ×4, first 2 shown]
	v_fma_f64 v[156:157], v[199:200], v[158:159], -v[156:157]
	s_waitcnt vmcnt(1) lgkmcnt(1)
	v_mul_f64 v[227:228], v[217:218], v[176:177]
	v_mul_f64 v[176:177], v[215:216], v[176:177]
	s_waitcnt vmcnt(0) lgkmcnt(0)
	v_mul_f64 v[229:230], v[221:222], v[197:198]
	v_mul_f64 v[197:198], v[219:220], v[197:198]
	v_fma_f64 v[158:159], v[201:202], v[158:159], v[160:161]
	v_fma_f64 v[160:161], v[203:204], v[162:163], -v[178:179]
	v_fma_f64 v[162:163], v[205:206], v[162:163], v[164:165]
	v_fma_f64 v[164:165], v[207:208], v[166:167], -v[223:224]
	;; [unrolled: 2-line block ×5, first 2 shown]
	v_fma_f64 v[178:179], v[221:222], v[195:196], v[197:198]
	ds_write_b128 v185, v[156:159] offset:1728
	ds_write_b128 v185, v[160:163] offset:4608
	;; [unrolled: 1-line block ×6, first 2 shown]
.LBB0_17:
	s_or_b64 exec, exec, s[4:5]
	s_waitcnt lgkmcnt(0)
	s_barrier
	ds_read_b128 v[172:175], v185
	ds_read_b128 v[160:163], v185 offset:2880
	ds_read_b128 v[176:179], v185 offset:5760
	;; [unrolled: 1-line block ×5, first 2 shown]
	s_and_saveexec_b64 s[4:5], s[0:1]
	s_cbranch_execz .LBB0_19
; %bb.18:
	v_lshl_add_u32 v152, v186, 4, v187
	ds_read_b128 v[132:135], v185 offset:1728
	ds_read_b128 v[140:143], v185 offset:7488
	;; [unrolled: 1-line block ×6, first 2 shown]
.LBB0_19:
	s_or_b64 exec, exec, s[4:5]
	s_waitcnt lgkmcnt(1)
	v_add_f64 v[195:196], v[176:177], v[168:169]
	s_waitcnt lgkmcnt(0)
	v_add_f64 v[199:200], v[166:167], v[158:159]
	v_add_f64 v[197:198], v[172:173], v[176:177]
	v_add_f64 v[201:202], v[178:179], -v[170:171]
	v_add_f64 v[203:204], v[164:165], v[156:157]
	s_mov_b32 s6, 0xe8584caa
	s_mov_b32 s7, 0xbfebb67a
	;; [unrolled: 1-line block ×3, first 2 shown]
	v_fma_f64 v[172:173], v[195:196], -0.5, v[172:173]
	v_add_f64 v[195:196], v[164:165], -v[156:157]
	v_fma_f64 v[199:200], v[199:200], -0.5, v[162:163]
	s_mov_b32 s4, s6
	v_add_f64 v[207:208], v[166:167], -v[158:159]
	v_add_f64 v[209:210], v[197:198], v[168:169]
	v_fma_f64 v[197:198], v[203:204], -0.5, v[160:161]
	v_add_f64 v[205:206], v[178:179], v[170:171]
	v_fma_f64 v[211:212], v[201:202], s[6:7], v[172:173]
	v_fma_f64 v[213:214], v[201:202], s[4:5], v[172:173]
	;; [unrolled: 1-line block ×3, first 2 shown]
	v_add_f64 v[178:179], v[174:175], v[178:179]
	v_add_f64 v[168:169], v[176:177], -v[168:169]
	v_add_f64 v[160:161], v[160:161], v[164:165]
	v_fma_f64 v[164:165], v[207:208], s[6:7], v[197:198]
	v_fma_f64 v[176:177], v[207:208], s[4:5], v[197:198]
	v_add_f64 v[162:163], v[162:163], v[166:167]
	v_fma_f64 v[195:196], v[195:196], s[6:7], v[199:200]
	v_mul_f64 v[197:198], v[172:173], s[6:7]
	v_mul_f64 v[166:167], v[172:173], 0.5
	v_fma_f64 v[174:175], v[205:206], -0.5, v[174:175]
	v_add_f64 v[217:218], v[178:179], v[170:171]
	v_add_f64 v[156:157], v[160:161], v[156:157]
	;; [unrolled: 1-line block ×4, first 2 shown]
	v_mul_f64 v[199:200], v[195:196], s[6:7]
	v_fma_f64 v[170:171], v[164:165], 0.5, v[197:198]
	v_fma_f64 v[221:222], v[164:165], s[4:5], v[166:167]
	v_add_f64 v[164:165], v[150:151], v[154:155]
	v_fma_f64 v[219:220], v[168:169], s[4:5], v[174:175]
	v_fma_f64 v[162:163], v[168:169], s[6:7], v[174:175]
	v_add_f64 v[166:167], v[148:149], v[152:153]
	v_add_f64 v[168:169], v[148:149], -v[152:153]
	v_mul_f64 v[160:161], v[195:196], -0.5
	v_fma_f64 v[215:216], v[176:177], -0.5, v[199:200]
	v_add_f64 v[195:196], v[209:210], v[156:157]
	v_fma_f64 v[164:165], v[164:165], -0.5, v[138:139]
	v_add_f64 v[199:200], v[211:212], v[170:171]
	v_add_f64 v[207:208], v[209:210], -v[156:157]
	v_add_f64 v[156:157], v[142:143], v[146:147]
	v_fma_f64 v[166:167], v[166:167], -0.5, v[136:137]
	v_add_f64 v[174:175], v[150:151], -v[154:155]
	v_add_f64 v[211:212], v[211:212], -v[170:171]
	v_fma_f64 v[160:161], v[176:177], s[4:5], v[160:161]
	v_fma_f64 v[170:171], v[168:169], s[4:5], v[164:165]
	;; [unrolled: 1-line block ×3, first 2 shown]
	v_fma_f64 v[168:169], v[172:173], -0.5, v[132:133]
	v_add_f64 v[172:173], v[142:143], -v[146:147]
	v_fma_f64 v[156:157], v[156:157], -0.5, v[134:135]
	v_add_f64 v[176:177], v[140:141], -v[144:145]
	v_fma_f64 v[178:179], v[174:175], s[6:7], v[166:167]
	v_fma_f64 v[209:210], v[174:175], s[4:5], v[166:167]
	v_mul_f64 v[223:224], v[170:171], s[6:7]
	v_mul_f64 v[225:226], v[164:165], s[6:7]
	v_mul_f64 v[227:228], v[170:171], 0.5
	v_mul_f64 v[229:230], v[164:165], -0.5
	v_fma_f64 v[164:165], v[172:173], s[6:7], v[168:169]
	v_fma_f64 v[166:167], v[172:173], s[4:5], v[168:169]
	;; [unrolled: 1-line block ×4, first 2 shown]
	v_fma_f64 v[168:169], v[178:179], 0.5, v[223:224]
	v_fma_f64 v[170:171], v[209:210], -0.5, v[225:226]
	v_fma_f64 v[176:177], v[178:179], s[4:5], v[227:228]
	v_fma_f64 v[178:179], v[209:210], s[4:5], v[229:230]
	v_add_f64 v[197:198], v[217:218], v[158:159]
	v_add_f64 v[205:206], v[162:163], v[160:161]
	v_add_f64 v[209:210], v[217:218], -v[158:159]
	v_add_f64 v[217:218], v[162:163], -v[160:161]
	;; [unrolled: 1-line block ×6, first 2 shown]
	v_add_f64 v[201:202], v[219:220], v[221:222]
	v_add_f64 v[203:204], v[213:214], v[215:216]
	v_add_f64 v[215:216], v[213:214], -v[215:216]
	v_add_f64 v[213:214], v[219:220], -v[221:222]
	s_barrier
	ds_write_b128 v191, v[195:198]
	ds_write_b128 v191, v[199:202] offset:16
	ds_write_b128 v191, v[203:206] offset:32
	;; [unrolled: 1-line block ×5, first 2 shown]
	s_and_saveexec_b64 s[4:5], s[0:1]
	s_cbranch_execz .LBB0_21
; %bb.20:
	v_add_f64 v[134:135], v[134:135], v[142:143]
	v_add_f64 v[138:139], v[138:139], v[150:151]
	;; [unrolled: 1-line block ×12, first 2 shown]
	v_add_f64 v[142:143], v[140:141], -v[146:147]
	v_add_f64 v[146:147], v[140:141], v[146:147]
	v_add_f64 v[144:145], v[148:149], v[150:151]
	v_add_f64 v[140:141], v[148:149], -v[150:151]
	v_lshl_add_u32 v148, v190, 4, v187
	ds_write_b128 v148, v[160:163] offset:64
	ds_write_b128 v148, v[136:139] offset:16
	;; [unrolled: 1-line block ×3, first 2 shown]
	ds_write_b128 v148, v[144:147]
	ds_write_b128 v148, v[140:143] offset:48
	ds_write_b128 v148, v[156:159] offset:80
.LBB0_21:
	s_or_b64 exec, exec, s[4:5]
	s_waitcnt lgkmcnt(0)
	s_barrier
	ds_read_b128 v[132:135], v185
	ds_read_b128 v[136:139], v185 offset:1728
	ds_read_b128 v[140:143], v185 offset:3456
	;; [unrolled: 1-line block ×5, first 2 shown]
	s_waitcnt lgkmcnt(4)
	v_mul_f64 v[190:191], v[42:43], v[138:139]
	v_mul_f64 v[42:43], v[42:43], v[136:137]
	s_waitcnt lgkmcnt(3)
	v_mul_f64 v[195:196], v[34:35], v[142:143]
	v_mul_f64 v[34:35], v[34:35], v[140:141]
	ds_read_b128 v[164:167], v185 offset:10368
	ds_read_b128 v[168:171], v185 offset:12096
	;; [unrolled: 1-line block ×4, first 2 shown]
	s_mov_b32 s6, 0x134454ff
	s_mov_b32 s7, 0xbfee6f0e
	v_fma_f64 v[136:137], v[40:41], v[136:137], v[190:191]
	v_fma_f64 v[40:41], v[40:41], v[138:139], -v[42:43]
	s_waitcnt lgkmcnt(6)
	v_mul_f64 v[42:43], v[30:31], v[146:147]
	v_mul_f64 v[30:31], v[30:31], v[144:145]
	v_fma_f64 v[138:139], v[32:33], v[140:141], v[195:196]
	s_waitcnt lgkmcnt(5)
	v_mul_f64 v[140:141], v[26:27], v[150:151]
	v_fma_f64 v[32:33], v[32:33], v[142:143], -v[34:35]
	v_mul_f64 v[26:27], v[26:27], v[148:149]
	s_waitcnt lgkmcnt(4)
	v_mul_f64 v[34:35], v[54:55], v[154:155]
	s_waitcnt lgkmcnt(3)
	v_mul_f64 v[142:143], v[46:47], v[166:167]
	v_fma_f64 v[42:43], v[28:29], v[144:145], v[42:43]
	v_fma_f64 v[28:29], v[28:29], v[146:147], -v[30:31]
	v_mul_f64 v[30:31], v[54:55], v[152:153]
	v_fma_f64 v[54:55], v[24:25], v[148:149], v[140:141]
	v_add_f64 v[140:141], v[132:133], v[138:139]
	v_fma_f64 v[24:25], v[24:25], v[150:151], -v[26:27]
	v_fma_f64 v[26:27], v[52:53], v[152:153], v[34:35]
	v_fma_f64 v[34:35], v[44:45], v[164:165], v[142:143]
	s_waitcnt lgkmcnt(1)
	v_mul_f64 v[142:143], v[50:51], v[172:173]
	v_mul_f64 v[50:51], v[50:51], v[174:175]
	v_fma_f64 v[30:31], v[52:53], v[154:155], -v[30:31]
	v_mul_f64 v[46:47], v[46:47], v[164:165]
	v_add_f64 v[52:53], v[140:141], v[54:55]
	v_mul_f64 v[140:141], v[38:39], v[170:171]
	v_mul_f64 v[38:39], v[38:39], v[168:169]
	v_add_f64 v[144:145], v[54:55], v[34:35]
	v_fma_f64 v[142:143], v[48:49], v[174:175], -v[142:143]
	v_fma_f64 v[48:49], v[48:49], v[172:173], v[50:51]
	s_waitcnt lgkmcnt(0)
	v_mul_f64 v[50:51], v[58:59], v[178:179]
	v_mul_f64 v[58:59], v[58:59], v[176:177]
	v_add_f64 v[52:53], v[52:53], v[34:35]
	v_fma_f64 v[44:45], v[44:45], v[166:167], -v[46:47]
	v_fma_f64 v[46:47], v[36:37], v[168:169], v[140:141]
	v_fma_f64 v[140:141], v[144:145], -0.5, v[132:133]
	v_add_f64 v[144:145], v[32:33], -v[142:143]
	v_add_f64 v[148:149], v[138:139], -v[54:55]
	;; [unrolled: 1-line block ×3, first 2 shown]
	s_mov_b32 s5, 0x3fee6f0e
	v_add_f64 v[146:147], v[52:53], v[48:49]
	v_add_f64 v[52:53], v[138:139], v[48:49]
	s_mov_b32 s4, s6
	v_fma_f64 v[36:37], v[36:37], v[170:171], -v[38:39]
	v_fma_f64 v[38:39], v[56:57], v[176:177], v[50:51]
	v_fma_f64 v[50:51], v[56:57], v[178:179], -v[58:59]
	v_fma_f64 v[56:57], v[144:145], s[6:7], v[140:141]
	v_add_f64 v[58:59], v[24:25], -v[44:45]
	v_fma_f64 v[140:141], v[144:145], s[4:5], v[140:141]
	v_fma_f64 v[52:53], v[52:53], -0.5, v[132:133]
	v_add_f64 v[132:133], v[148:149], v[150:151]
	v_add_f64 v[148:149], v[24:25], v[44:45]
	s_mov_b32 s18, 0x4755a5e
	s_mov_b32 s19, 0xbfe2cf23
	;; [unrolled: 1-line block ×4, first 2 shown]
	v_fma_f64 v[56:57], v[58:59], s[18:19], v[56:57]
	v_fma_f64 v[140:141], v[58:59], s[12:13], v[140:141]
	;; [unrolled: 1-line block ×3, first 2 shown]
	v_add_f64 v[152:153], v[54:55], -v[138:139]
	v_add_f64 v[154:155], v[34:35], -v[48:49]
	v_add_f64 v[164:165], v[134:135], v[32:33]
	v_fma_f64 v[148:149], v[148:149], -0.5, v[134:135]
	v_add_f64 v[48:49], v[138:139], -v[48:49]
	v_fma_f64 v[138:139], v[132:133], s[16:17], v[56:57]
	v_fma_f64 v[140:141], v[132:133], s[16:17], v[140:141]
	;; [unrolled: 1-line block ×4, first 2 shown]
	v_add_f64 v[132:133], v[152:153], v[154:155]
	v_add_f64 v[58:59], v[164:165], v[24:25]
	v_add_f64 v[34:35], v[54:55], -v[34:35]
	v_fma_f64 v[150:151], v[48:49], s[4:5], v[148:149]
	v_add_f64 v[54:55], v[32:33], -v[24:25]
	v_add_f64 v[152:153], v[142:143], -v[44:45]
	v_fma_f64 v[148:149], v[48:49], s[6:7], v[148:149]
	v_add_f64 v[154:155], v[32:33], v[142:143]
	v_fma_f64 v[52:53], v[144:145], s[12:13], v[52:53]
	v_add_f64 v[58:59], v[58:59], v[44:45]
	;; [unrolled: 2-line block ×4, first 2 shown]
	v_fma_f64 v[148:149], v[34:35], s[18:19], v[148:149]
	v_fma_f64 v[134:135], v[154:155], -0.5, v[134:135]
	v_fma_f64 v[152:153], v[132:133], s[16:17], v[52:53]
	v_add_f64 v[154:155], v[58:59], v[142:143]
	v_add_f64 v[52:53], v[136:137], v[42:43]
	v_fma_f64 v[56:57], v[56:57], -0.5, v[136:137]
	v_add_f64 v[58:59], v[28:29], -v[50:51]
	v_fma_f64 v[150:151], v[54:55], s[16:17], v[150:151]
	v_fma_f64 v[148:149], v[54:55], s[16:17], v[148:149]
	;; [unrolled: 1-line block ×3, first 2 shown]
	v_add_f64 v[24:25], v[24:25], -v[32:33]
	v_add_f64 v[32:33], v[44:45], -v[142:143]
	v_fma_f64 v[34:35], v[34:35], s[4:5], v[134:135]
	v_add_f64 v[44:45], v[52:53], v[26:27]
	v_fma_f64 v[52:53], v[58:59], s[6:7], v[56:57]
	v_add_f64 v[132:133], v[30:31], -v[36:37]
	v_add_f64 v[134:135], v[42:43], -v[26:27]
	;; [unrolled: 1-line block ×3, first 2 shown]
	v_add_f64 v[164:165], v[42:43], v[38:39]
	v_add_f64 v[166:167], v[30:31], v[36:37]
	;; [unrolled: 1-line block ×3, first 2 shown]
	v_fma_f64 v[32:33], v[48:49], s[18:19], v[34:35]
	v_fma_f64 v[54:55], v[48:49], s[12:13], v[54:55]
	v_add_f64 v[34:35], v[44:45], v[46:47]
	v_fma_f64 v[44:45], v[132:133], s[18:19], v[52:53]
	v_add_f64 v[48:49], v[134:135], v[142:143]
	v_fma_f64 v[52:53], v[164:165], -0.5, v[136:137]
	v_fma_f64 v[56:57], v[58:59], s[4:5], v[56:57]
	v_fma_f64 v[134:135], v[166:167], -0.5, v[40:41]
	v_add_f64 v[136:137], v[42:43], -v[38:39]
	v_fma_f64 v[164:165], v[24:25], s[16:17], v[32:33]
	v_add_f64 v[32:33], v[28:29], v[50:51]
	v_fma_f64 v[142:143], v[24:25], s[16:17], v[54:55]
	v_fma_f64 v[54:55], v[48:49], s[16:17], v[44:45]
	v_add_f64 v[166:167], v[26:27], -v[46:47]
	v_fma_f64 v[44:45], v[132:133], s[12:13], v[56:57]
	v_add_f64 v[168:169], v[28:29], -v[30:31]
	v_fma_f64 v[56:57], v[136:137], s[4:5], v[134:135]
	v_add_f64 v[170:171], v[50:51], -v[36:37]
	v_fma_f64 v[32:33], v[32:33], -0.5, v[40:41]
	v_add_f64 v[40:41], v[40:41], v[28:29]
	v_add_f64 v[24:25], v[34:35], v[38:39]
	v_fma_f64 v[34:35], v[132:133], s[4:5], v[52:53]
	v_add_f64 v[26:27], v[26:27], -v[42:43]
	v_add_f64 v[38:39], v[46:47], -v[38:39]
	v_fma_f64 v[42:43], v[132:133], s[6:7], v[52:53]
	v_fma_f64 v[46:47], v[166:167], s[12:13], v[56:57]
	v_add_f64 v[52:53], v[168:169], v[170:171]
	v_fma_f64 v[56:57], v[166:167], s[6:7], v[32:33]
	v_add_f64 v[28:29], v[30:31], -v[28:29]
	v_add_f64 v[132:133], v[36:37], -v[50:51]
	v_fma_f64 v[32:33], v[166:167], s[4:5], v[32:33]
	v_add_f64 v[30:31], v[40:41], v[30:31]
	v_fma_f64 v[40:41], v[136:137], s[6:7], v[134:135]
	v_fma_f64 v[34:35], v[58:59], s[18:19], v[34:35]
	v_add_f64 v[26:27], v[26:27], v[38:39]
	v_fma_f64 v[38:39], v[58:59], s[12:13], v[42:43]
	v_fma_f64 v[42:43], v[52:53], s[16:17], v[46:47]
	;; [unrolled: 1-line block ×3, first 2 shown]
	v_add_f64 v[28:29], v[28:29], v[132:133]
	v_fma_f64 v[32:33], v[136:137], s[18:19], v[32:33]
	v_add_f64 v[30:31], v[30:31], v[36:37]
	v_fma_f64 v[36:37], v[166:167], s[18:19], v[40:41]
	v_fma_f64 v[40:41], v[48:49], s[16:17], v[44:45]
	;; [unrolled: 1-line block ×4, first 2 shown]
	v_mul_f64 v[38:39], v[42:43], s[18:19]
	v_fma_f64 v[44:45], v[28:29], s[16:17], v[46:47]
	v_fma_f64 v[32:33], v[28:29], s[16:17], v[32:33]
	v_add_f64 v[134:135], v[30:31], v[50:51]
	v_fma_f64 v[30:31], v[52:53], s[16:17], v[36:37]
	s_mov_b32 s20, 0x9b97f4a8
	s_mov_b32 s21, 0x3fe9e377
	v_mul_f64 v[42:43], v[42:43], s[20:21]
	v_fma_f64 v[36:37], v[54:55], s[20:21], v[38:39]
	v_mul_f64 v[38:39], v[44:45], s[6:7]
	v_mul_f64 v[46:47], v[32:33], s[6:7]
	s_mov_b32 s7, 0xbfd3c6ef
	s_mov_b32 s6, s16
	v_mul_f64 v[50:51], v[44:45], s[16:17]
	v_mul_f64 v[48:49], v[30:31], s[18:19]
	s_mov_b32 s19, 0xbfe9e377
	s_mov_b32 s18, s20
	v_mul_f64 v[32:33], v[32:33], s[6:7]
	v_mul_f64 v[30:31], v[30:31], s[18:19]
	v_fma_f64 v[42:43], v[54:55], s[12:13], v[42:43]
	v_fma_f64 v[38:39], v[34:35], s[16:17], v[38:39]
	;; [unrolled: 1-line block ×5, first 2 shown]
	v_add_f64 v[28:29], v[146:147], v[24:25]
	v_fma_f64 v[168:169], v[26:27], s[4:5], v[32:33]
	v_fma_f64 v[170:171], v[40:41], s[12:13], v[30:31]
	v_add_f64 v[30:31], v[154:155], v[134:135]
	v_add_f64 v[44:45], v[138:139], v[36:37]
	;; [unrolled: 1-line block ×9, first 2 shown]
	v_add_f64 v[132:133], v[146:147], -v[24:25]
	v_add_f64 v[134:135], v[154:155], -v[134:135]
	v_add_f64 v[24:25], v[138:139], -v[36:37]
	v_add_f64 v[26:27], v[150:151], -v[42:43]
	v_add_f64 v[32:33], v[144:145], -v[38:39]
	v_add_f64 v[34:35], v[142:143], -v[34:35]
	v_add_f64 v[36:37], v[152:153], -v[136:137]
	v_add_f64 v[40:41], v[140:141], -v[166:167]
	v_add_f64 v[38:39], v[164:165], -v[168:169]
	v_add_f64 v[42:43], v[148:149], -v[170:171]
	s_barrier
	ds_write_b128 v192, v[28:31]
	ds_write_b128 v192, v[44:47] offset:96
	ds_write_b128 v192, v[48:51] offset:192
	;; [unrolled: 1-line block ×9, first 2 shown]
	s_waitcnt lgkmcnt(0)
	s_barrier
	ds_read_b128 v[28:31], v185
	ds_read_b128 v[132:135], v185 offset:2880
	ds_read_b128 v[56:59], v185 offset:5760
	;; [unrolled: 1-line block ×5, first 2 shown]
	s_and_saveexec_b64 s[4:5], s[0:1]
	s_cbranch_execz .LBB0_23
; %bb.22:
	ds_read_b128 v[24:27], v185 offset:1728
	ds_read_b128 v[32:35], v185 offset:4608
	;; [unrolled: 1-line block ×6, first 2 shown]
.LBB0_23:
	s_or_b64 exec, exec, s[4:5]
	s_waitcnt lgkmcnt(3)
	v_mul_f64 v[138:139], v[74:75], v[58:59]
	v_mul_f64 v[74:75], v[74:75], v[56:57]
	;; [unrolled: 1-line block ×4, first 2 shown]
	s_waitcnt lgkmcnt(2)
	v_mul_f64 v[140:141], v[66:67], v[54:55]
	v_mul_f64 v[66:67], v[66:67], v[52:53]
	s_mov_b32 s6, 0xe8584caa
	s_mov_b32 s7, 0xbfebb67a
	v_fma_f64 v[56:57], v[72:73], v[56:57], v[138:139]
	v_fma_f64 v[58:59], v[72:73], v[58:59], -v[74:75]
	s_waitcnt lgkmcnt(1)
	v_mul_f64 v[72:73], v[62:63], v[50:51]
	v_mul_f64 v[62:63], v[62:63], v[48:49]
	v_fma_f64 v[132:133], v[76:77], v[132:133], v[136:137]
	v_fma_f64 v[76:77], v[76:77], v[134:135], -v[78:79]
	s_waitcnt lgkmcnt(0)
	v_mul_f64 v[78:79], v[90:91], v[44:45]
	v_fma_f64 v[52:53], v[64:65], v[52:53], v[140:141]
	v_mul_f64 v[74:75], v[90:91], v[46:47]
	v_fma_f64 v[54:55], v[64:65], v[54:55], -v[66:67]
	v_fma_f64 v[48:49], v[60:61], v[48:49], v[72:73]
	v_fma_f64 v[50:51], v[60:61], v[50:51], -v[62:63]
	v_mul_f64 v[60:61], v[98:99], v[38:39]
	v_mul_f64 v[64:65], v[106:107], v[32:33]
	v_fma_f64 v[46:47], v[88:89], v[46:47], -v[78:79]
	v_mul_f64 v[62:63], v[98:99], v[36:37]
	v_mul_f64 v[90:91], v[106:107], v[34:35]
	v_fma_f64 v[44:45], v[88:89], v[44:45], v[74:75]
	v_mul_f64 v[66:67], v[86:87], v[40:41]
	v_mul_f64 v[72:73], v[70:71], v[158:159]
	v_fma_f64 v[78:79], v[96:97], v[36:37], v[60:61]
	v_mul_f64 v[36:37], v[82:83], v[162:163]
	v_fma_f64 v[34:35], v[104:105], v[34:35], -v[64:65]
	v_mul_f64 v[64:65], v[86:87], v[42:43]
	v_mul_f64 v[60:61], v[82:83], v[160:161]
	v_fma_f64 v[38:39], v[96:97], v[38:39], -v[62:63]
	v_add_f64 v[62:63], v[56:57], v[48:49]
	s_mov_b32 s5, 0x3febb67a
	s_mov_b32 s4, s6
	v_fma_f64 v[86:87], v[80:81], v[160:161], v[36:37]
	v_add_f64 v[36:37], v[54:55], v[46:47]
	v_fma_f64 v[82:83], v[84:85], v[40:41], v[64:65]
	v_fma_f64 v[84:85], v[84:85], v[42:43], -v[66:67]
	v_add_f64 v[40:41], v[28:29], v[56:57]
	v_fma_f64 v[42:43], v[80:81], v[162:163], -v[60:61]
	v_fma_f64 v[28:29], v[62:63], -0.5, v[28:29]
	v_add_f64 v[60:61], v[58:59], -v[50:51]
	v_add_f64 v[64:65], v[52:53], v[44:45]
	v_fma_f64 v[36:37], v[36:37], -0.5, v[76:77]
	v_add_f64 v[66:67], v[52:53], -v[44:45]
	v_fma_f64 v[88:89], v[68:69], v[156:157], v[72:73]
	v_mul_f64 v[62:63], v[70:71], v[156:157]
	v_add_f64 v[70:71], v[58:59], v[50:51]
	v_add_f64 v[72:73], v[54:55], -v[46:47]
	v_fma_f64 v[74:75], v[60:61], s[6:7], v[28:29]
	v_fma_f64 v[64:65], v[64:65], -0.5, v[132:133]
	v_fma_f64 v[28:29], v[60:61], s[4:5], v[28:29]
	v_fma_f64 v[60:61], v[66:67], s[4:5], v[36:37]
	v_add_f64 v[58:59], v[30:31], v[58:59]
	v_add_f64 v[40:41], v[40:41], v[48:49]
	v_fma_f64 v[36:37], v[66:67], s[6:7], v[36:37]
	v_add_f64 v[48:49], v[56:57], -v[48:49]
	v_add_f64 v[52:53], v[132:133], v[52:53]
	v_fma_f64 v[56:57], v[72:73], s[6:7], v[64:65]
	v_fma_f64 v[30:31], v[70:71], -0.5, v[30:31]
	v_mul_f64 v[66:67], v[60:61], s[6:7]
	v_add_f64 v[50:51], v[58:59], v[50:51]
	v_mul_f64 v[58:59], v[60:61], 0.5
	v_fma_f64 v[64:65], v[72:73], s[4:5], v[64:65]
	v_mul_f64 v[70:71], v[36:37], s[6:7]
	v_add_f64 v[54:55], v[76:77], v[54:55]
	v_mul_f64 v[36:37], v[36:37], -0.5
	v_add_f64 v[44:45], v[52:53], v[44:45]
	v_fma_f64 v[52:53], v[56:57], 0.5, v[66:67]
	v_fma_f64 v[32:33], v[104:105], v[32:33], v[90:91]
	v_fma_f64 v[96:97], v[56:57], s[4:5], v[58:59]
	v_fma_f64 v[56:57], v[68:69], v[158:159], -v[62:63]
	v_fma_f64 v[80:81], v[64:65], -0.5, v[70:71]
	v_add_f64 v[46:47], v[54:55], v[46:47]
	v_fma_f64 v[98:99], v[64:65], s[4:5], v[36:37]
	v_add_f64 v[60:61], v[40:41], v[44:45]
	v_add_f64 v[36:37], v[78:79], v[86:87]
	v_add_f64 v[72:73], v[40:41], -v[44:45]
	v_fma_f64 v[90:91], v[48:49], s[4:5], v[30:31]
	v_add_f64 v[40:41], v[84:85], v[56:57]
	v_fma_f64 v[30:31], v[48:49], s[6:7], v[30:31]
	v_add_f64 v[64:65], v[74:75], v[52:53]
	v_add_f64 v[68:69], v[28:29], v[80:81]
	;; [unrolled: 1-line block ×3, first 2 shown]
	v_add_f64 v[76:77], v[74:75], -v[52:53]
	v_add_f64 v[44:45], v[24:25], v[78:79]
	v_add_f64 v[80:81], v[28:29], -v[80:81]
	v_fma_f64 v[24:25], v[36:37], -0.5, v[24:25]
	v_add_f64 v[28:29], v[38:39], -v[42:43]
	v_add_f64 v[48:49], v[82:83], v[88:89]
	v_add_f64 v[74:75], v[50:51], -v[46:47]
	v_fma_f64 v[46:47], v[40:41], -0.5, v[34:35]
	v_add_f64 v[50:51], v[82:83], -v[88:89]
	v_add_f64 v[36:37], v[44:45], v[86:87]
	v_add_f64 v[44:45], v[26:27], v[38:39]
	;; [unrolled: 1-line block ×3, first 2 shown]
	v_fma_f64 v[38:39], v[28:29], s[6:7], v[24:25]
	v_fma_f64 v[48:49], v[48:49], -0.5, v[32:33]
	v_add_f64 v[54:55], v[84:85], -v[56:57]
	v_fma_f64 v[40:41], v[28:29], s[4:5], v[24:25]
	v_fma_f64 v[24:25], v[50:51], s[4:5], v[46:47]
	;; [unrolled: 1-line block ×3, first 2 shown]
	v_add_f64 v[42:43], v[44:45], v[42:43]
	v_fma_f64 v[26:27], v[52:53], -0.5, v[26:27]
	v_add_f64 v[44:45], v[78:79], -v[86:87]
	v_add_f64 v[32:33], v[32:33], v[82:83]
	v_fma_f64 v[58:59], v[54:55], s[6:7], v[48:49]
	v_fma_f64 v[78:79], v[54:55], s[4:5], v[48:49]
	v_mul_f64 v[46:47], v[24:25], s[6:7]
	v_mul_f64 v[48:49], v[28:29], s[6:7]
	v_add_f64 v[34:35], v[34:35], v[84:85]
	v_mul_f64 v[24:25], v[24:25], 0.5
	v_mul_f64 v[28:29], v[28:29], -0.5
	v_fma_f64 v[50:51], v[44:45], s[4:5], v[26:27]
	v_fma_f64 v[54:55], v[44:45], s[6:7], v[26:27]
	v_add_f64 v[44:45], v[32:33], v[88:89]
	v_fma_f64 v[46:47], v[58:59], 0.5, v[46:47]
	v_fma_f64 v[48:49], v[78:79], -0.5, v[48:49]
	v_add_f64 v[52:53], v[34:35], v[56:57]
	v_fma_f64 v[56:57], v[58:59], s[4:5], v[24:25]
	v_fma_f64 v[58:59], v[78:79], s[4:5], v[28:29]
	v_add_f64 v[70:71], v[30:31], v[98:99]
	v_add_f64 v[82:83], v[30:31], -v[98:99]
	v_add_f64 v[24:25], v[36:37], -v[44:45]
	;; [unrolled: 1-line block ×7, first 2 shown]
	v_add_f64 v[66:67], v[90:91], v[96:97]
	v_add_f64 v[78:79], v[90:91], -v[96:97]
	s_barrier
	ds_write_b128 v194, v[60:63]
	ds_write_b128 v194, v[64:67] offset:960
	ds_write_b128 v194, v[68:71] offset:1920
	;; [unrolled: 1-line block ×5, first 2 shown]
	s_and_saveexec_b64 s[4:5], s[0:1]
	s_cbranch_execz .LBB0_25
; %bb.24:
	v_add_f64 v[62:63], v[42:43], v[52:53]
	v_add_f64 v[60:61], v[36:37], v[44:45]
	;; [unrolled: 1-line block ×6, first 2 shown]
	v_mul_u32_u24_e32 v36, 0x168, v188
	v_add_u32_e32 v36, v36, v189
	v_lshl_add_u32 v36, v36, 4, v187
	ds_write_b128 v36, v[60:63]
	ds_write_b128 v36, v[56:59] offset:960
	ds_write_b128 v36, v[52:55] offset:1920
	;; [unrolled: 1-line block ×5, first 2 shown]
.LBB0_25:
	s_or_b64 exec, exec, s[4:5]
	s_waitcnt lgkmcnt(0)
	s_barrier
	ds_read_b128 v[44:47], v185
	ds_read_b128 v[40:43], v185 offset:1728
	ds_read_b128 v[64:67], v185 offset:11520
	;; [unrolled: 1-line block ×8, first 2 shown]
	v_add_u32_e32 v72, 0xd80, v180
	s_and_saveexec_b64 s[4:5], s[2:3]
	s_cbranch_execz .LBB0_27
; %bb.26:
	ds_read_b128 v[24:27], v185 offset:5184
	ds_read_b128 v[28:31], v185 offset:10944
	;; [unrolled: 1-line block ×3, first 2 shown]
.LBB0_27:
	s_or_b64 exec, exec, s[4:5]
	s_waitcnt lgkmcnt(4)
	v_mul_f64 v[73:74], v[110:111], v[70:71]
	v_mul_f64 v[75:76], v[114:115], v[66:67]
	;; [unrolled: 1-line block ×4, first 2 shown]
	s_waitcnt lgkmcnt(2)
	v_mul_f64 v[81:82], v[118:119], v[62:63]
	v_mul_f64 v[85:86], v[122:123], v[54:55]
	;; [unrolled: 1-line block ×3, first 2 shown]
	s_waitcnt lgkmcnt(0)
	v_mul_f64 v[96:97], v[126:127], v[48:49]
	v_fma_f64 v[68:69], v[108:109], v[68:69], v[73:74]
	v_fma_f64 v[64:65], v[112:113], v[64:65], v[75:76]
	v_fma_f64 v[70:71], v[108:109], v[70:71], -v[77:78]
	v_fma_f64 v[66:67], v[112:113], v[66:67], -v[79:80]
	v_mul_f64 v[73:74], v[122:123], v[52:53]
	v_mul_f64 v[75:76], v[130:131], v[58:59]
	v_fma_f64 v[79:80], v[116:117], v[60:61], v[81:82]
	v_fma_f64 v[81:82], v[120:121], v[52:53], v[85:86]
	v_mul_f64 v[87:88], v[130:131], v[56:57]
	v_mul_f64 v[89:90], v[126:127], v[50:51]
	v_add_f64 v[77:78], v[68:69], v[64:65]
	v_add_f64 v[52:53], v[44:45], v[68:69]
	;; [unrolled: 1-line block ×3, first 2 shown]
	v_fma_f64 v[62:63], v[116:117], v[62:63], -v[83:84]
	v_fma_f64 v[73:74], v[120:121], v[54:55], -v[73:74]
	v_fma_f64 v[75:76], v[128:129], v[56:57], v[75:76]
	v_add_f64 v[56:57], v[70:71], -v[66:67]
	v_add_f64 v[70:71], v[46:47], v[70:71]
	v_fma_f64 v[83:84], v[124:125], v[50:51], -v[96:97]
	v_add_f64 v[50:51], v[79:80], v[81:82]
	v_fma_f64 v[58:59], v[128:129], v[58:59], -v[87:88]
	v_fma_f64 v[54:55], v[77:78], -0.5, v[44:45]
	v_fma_f64 v[77:78], v[124:125], v[48:49], v[89:90]
	v_add_f64 v[44:45], v[52:53], v[64:65]
	v_fma_f64 v[60:61], v[60:61], -0.5, v[46:47]
	v_add_f64 v[64:65], v[68:69], -v[64:65]
	v_add_f64 v[68:69], v[40:41], v[79:80]
	v_add_f64 v[46:47], v[70:71], v[66:67]
	;; [unrolled: 1-line block ×3, first 2 shown]
	s_mov_b32 s4, 0xe8584caa
	s_mov_b32 s5, 0xbfebb67a
	s_mov_b32 s7, 0x3febb67a
	s_mov_b32 s6, s4
	v_fma_f64 v[85:86], v[50:51], -0.5, v[40:41]
	v_add_f64 v[87:88], v[62:63], -v[73:74]
	v_fma_f64 v[48:49], v[56:57], s[4:5], v[54:55]
	v_fma_f64 v[52:53], v[56:57], s[6:7], v[54:55]
	;; [unrolled: 1-line block ×4, first 2 shown]
	v_add_f64 v[40:41], v[68:69], v[81:82]
	v_add_f64 v[64:65], v[75:76], v[77:78]
	;; [unrolled: 1-line block ×4, first 2 shown]
	v_fma_f64 v[66:67], v[66:67], -0.5, v[42:43]
	v_add_f64 v[70:71], v[79:80], -v[81:82]
	v_fma_f64 v[56:57], v[87:88], s[4:5], v[85:86]
	v_fma_f64 v[60:61], v[87:88], s[6:7], v[85:86]
	v_add_f64 v[79:80], v[36:37], v[75:76]
	v_add_f64 v[87:88], v[38:39], v[58:59]
	v_fma_f64 v[81:82], v[64:65], -0.5, v[36:37]
	v_add_f64 v[85:86], v[58:59], -v[83:84]
	v_fma_f64 v[89:90], v[68:69], -0.5, v[38:39]
	v_add_f64 v[75:76], v[75:76], -v[77:78]
	v_add_f64 v[42:43], v[62:63], v[73:74]
	v_fma_f64 v[58:59], v[70:71], s[6:7], v[66:67]
	v_fma_f64 v[62:63], v[70:71], s[4:5], v[66:67]
	v_add_f64 v[36:37], v[79:80], v[77:78]
	v_add_f64 v[38:39], v[87:88], v[83:84]
	v_fma_f64 v[64:65], v[85:86], s[4:5], v[81:82]
	v_fma_f64 v[68:69], v[85:86], s[6:7], v[81:82]
	;; [unrolled: 1-line block ×4, first 2 shown]
	ds_write_b128 v185, v[44:47]
	ds_write_b128 v185, v[48:51] offset:5760
	ds_write_b128 v185, v[52:55] offset:11520
	;; [unrolled: 1-line block ×8, first 2 shown]
	s_and_saveexec_b64 s[12:13], s[2:3]
	s_cbranch_execz .LBB0_29
; %bb.28:
	v_mul_f64 v[36:37], v[94:95], v[28:29]
	v_mul_f64 v[38:39], v[102:103], v[32:33]
	;; [unrolled: 1-line block ×4, first 2 shown]
	v_fma_f64 v[30:31], v[92:93], v[30:31], -v[36:37]
	v_fma_f64 v[34:35], v[100:101], v[34:35], -v[38:39]
	v_fma_f64 v[28:29], v[92:93], v[28:29], v[40:41]
	v_fma_f64 v[32:33], v[100:101], v[32:33], v[42:43]
	v_add_f64 v[42:43], v[26:27], v[30:31]
	v_add_f64 v[36:37], v[30:31], v[34:35]
	v_add_f64 v[44:45], v[30:31], -v[34:35]
	v_add_f64 v[38:39], v[28:29], v[32:33]
	v_add_f64 v[40:41], v[28:29], -v[32:33]
	v_add_f64 v[28:29], v[24:25], v[28:29]
	v_fma_f64 v[36:37], v[36:37], -0.5, v[26:27]
	v_add_f64 v[26:27], v[42:43], v[34:35]
	v_fma_f64 v[38:39], v[38:39], -0.5, v[24:25]
	v_add_f64 v[24:25], v[28:29], v[32:33]
	v_fma_f64 v[34:35], v[40:41], s[6:7], v[36:37]
	v_fma_f64 v[30:31], v[40:41], s[4:5], v[36:37]
	;; [unrolled: 1-line block ×4, first 2 shown]
	ds_write_b128 v185, v[24:27] offset:5184
	ds_write_b128 v185, v[32:35] offset:10944
	;; [unrolled: 1-line block ×3, first 2 shown]
.LBB0_29:
	s_or_b64 exec, exec, s[12:13]
	s_waitcnt lgkmcnt(0)
	s_barrier
	ds_read_b128 v[24:27], v185
	ds_read_b128 v[28:31], v185 offset:2880
	v_mad_u64_u32 v[32:33], s[2:3], s10, v184, 0
	s_mul_i32 s4, s9, 0xb4
	s_waitcnt lgkmcnt(1)
	v_mul_f64 v[34:35], v[22:23], v[26:27]
	v_mul_f64 v[22:23], v[22:23], v[24:25]
	s_mul_hi_u32 s5, s8, 0xb4
	s_add_i32 s5, s5, s4
	s_mul_i32 s4, s8, 0xb4
	s_lshl_b64 s[4:5], s[4:5], 4
	v_mad_u64_u32 v[36:37], s[2:3], s11, v184, v[33:34]
	v_mad_u64_u32 v[37:38], s[2:3], s8, v186, 0
	v_fma_f64 v[24:25], v[20:21], v[24:25], v[34:35]
	v_fma_f64 v[22:23], v[20:21], v[26:27], -v[22:23]
	v_mov_b32_e32 v20, v38
	v_mad_u64_u32 v[26:27], s[2:3], s9, v186, v[20:21]
	s_mov_b32 s2, 0xc901e574
	s_mov_b32 s3, 0x3f4e573a
	v_mov_b32_e32 v38, v26
	s_waitcnt lgkmcnt(0)
	v_mul_f64 v[26:27], v[18:19], v[30:31]
	v_mul_f64 v[18:19], v[18:19], v[28:29]
	v_mov_b32_e32 v33, v36
	v_mul_f64 v[20:21], v[24:25], s[2:3]
	v_mul_f64 v[22:23], v[22:23], s[2:3]
	v_lshlrev_b64 v[24:25], 4, v[32:33]
	v_mov_b32_e32 v32, s15
	v_add_co_u32_e32 v33, vcc, s14, v24
	v_fma_f64 v[26:27], v[16:17], v[28:29], v[26:27]
	v_fma_f64 v[28:29], v[16:17], v[30:31], -v[18:19]
	ds_read_b128 v[16:19], v185 offset:5760
	v_addc_co_u32_e32 v32, vcc, v32, v25, vcc
	v_lshlrev_b64 v[24:25], 4, v[37:38]
	v_add_co_u32_e32 v30, vcc, v33, v24
	v_addc_co_u32_e32 v31, vcc, v32, v25, vcc
	global_store_dwordx4 v[30:31], v[20:23], off
	v_mov_b32_e32 v32, s5
	v_mul_f64 v[20:21], v[26:27], s[2:3]
	ds_read_b128 v[24:27], v185 offset:8640
	v_mul_f64 v[22:23], v[28:29], s[2:3]
	s_waitcnt lgkmcnt(1)
	v_mul_f64 v[28:29], v[6:7], v[18:19]
	v_mul_f64 v[6:7], v[6:7], v[16:17]
	v_add_co_u32_e32 v30, vcc, s4, v30
	v_addc_co_u32_e32 v31, vcc, v31, v32, vcc
	global_store_dwordx4 v[30:31], v[20:23], off
	v_fma_f64 v[16:17], v[4:5], v[16:17], v[28:29]
	v_fma_f64 v[6:7], v[4:5], v[18:19], -v[6:7]
	s_waitcnt lgkmcnt(0)
	v_mul_f64 v[28:29], v[10:11], v[26:27]
	v_mul_f64 v[10:11], v[10:11], v[24:25]
	ds_read_b128 v[20:23], v185 offset:14400
	v_add_co_u32_e32 v30, vcc, s4, v30
	v_addc_co_u32_e32 v31, vcc, v31, v32, vcc
	v_mul_f64 v[4:5], v[16:17], s[2:3]
	ds_read_b128 v[16:19], v185 offset:11520
	v_mul_f64 v[6:7], v[6:7], s[2:3]
	v_fma_f64 v[24:25], v[8:9], v[24:25], v[28:29]
	v_fma_f64 v[8:9], v[8:9], v[26:27], -v[10:11]
	s_waitcnt lgkmcnt(1)
	v_mul_f64 v[28:29], v[14:15], v[22:23]
	s_waitcnt lgkmcnt(0)
	v_mul_f64 v[10:11], v[2:3], v[18:19]
	v_mul_f64 v[26:27], v[2:3], v[16:17]
	;; [unrolled: 1-line block ×3, first 2 shown]
	global_store_dwordx4 v[30:31], v[4:7], off
	v_mul_f64 v[2:3], v[24:25], s[2:3]
	v_mul_f64 v[4:5], v[8:9], s[2:3]
	v_fma_f64 v[6:7], v[0:1], v[16:17], v[10:11]
	v_fma_f64 v[0:1], v[0:1], v[18:19], -v[26:27]
	v_fma_f64 v[10:11], v[12:13], v[20:21], v[28:29]
	v_fma_f64 v[12:13], v[12:13], v[22:23], -v[14:15]
	v_add_co_u32_e32 v14, vcc, s4, v30
	v_addc_co_u32_e32 v15, vcc, v31, v32, vcc
	v_mul_f64 v[6:7], v[6:7], s[2:3]
	v_mul_f64 v[8:9], v[0:1], s[2:3]
	global_store_dwordx4 v[14:15], v[2:5], off
	v_add_co_u32_e32 v0, vcc, s4, v14
	v_mul_f64 v[2:3], v[10:11], s[2:3]
	v_mul_f64 v[4:5], v[12:13], s[2:3]
	v_addc_co_u32_e32 v1, vcc, v15, v32, vcc
	global_store_dwordx4 v[0:1], v[6:9], off
	v_add_co_u32_e32 v0, vcc, s4, v0
	v_addc_co_u32_e32 v1, vcc, v1, v32, vcc
	global_store_dwordx4 v[0:1], v[2:5], off
	s_and_b64 exec, exec, s[0:1]
	s_cbranch_execz .LBB0_31
; %bb.30:
	s_movk_i32 s0, 0x1000
	v_add_co_u32_e32 v14, vcc, s0, v182
	global_load_dwordx4 v[2:5], v[182:183], off offset:1728
	v_addc_co_u32_e32 v15, vcc, 0, v183, vcc
	s_movk_i32 s0, 0x2000
	global_load_dwordx4 v[6:9], v[14:15], off offset:512
	global_load_dwordx4 v[10:13], v[14:15], off offset:3392
	v_add_co_u32_e32 v14, vcc, s0, v182
	v_addc_co_u32_e32 v15, vcc, 0, v183, vcc
	s_movk_i32 s0, 0x3000
	global_load_dwordx4 v[14:17], v[14:15], off offset:2176
	v_add_co_u32_e32 v26, vcc, s0, v182
	v_addc_co_u32_e32 v27, vcc, 0, v183, vcc
	global_load_dwordx4 v[18:21], v[26:27], off offset:960
	global_load_dwordx4 v[22:25], v[26:27], off offset:3840
	ds_read_b128 v[26:29], v185 offset:1728
	ds_read_b128 v[30:33], v185 offset:4608
	;; [unrolled: 1-line block ×4, first 2 shown]
	v_mov_b32_e32 v42, 0xffffce80
	v_mad_u64_u32 v[50:51], s[0:1], s8, v42, v[0:1]
	ds_read_b128 v[42:45], v185 offset:13248
	ds_read_b128 v[46:49], v185 offset:16128
	s_mul_i32 s6, s9, 0xffffce80
	s_sub_i32 s0, s6, s8
	v_mov_b32_e32 v70, s5
	v_add_u32_e32 v51, s0, v51
	v_add_co_u32_e32 v52, vcc, s4, v50
	v_addc_co_u32_e32 v53, vcc, v51, v70, vcc
	v_add_co_u32_e32 v54, vcc, s4, v52
	v_addc_co_u32_e32 v55, vcc, v53, v70, vcc
	;; [unrolled: 2-line block ×4, first 2 shown]
	s_waitcnt vmcnt(5) lgkmcnt(5)
	v_mul_f64 v[0:1], v[28:29], v[4:5]
	v_mul_f64 v[4:5], v[26:27], v[4:5]
	s_waitcnt vmcnt(4) lgkmcnt(4)
	v_mul_f64 v[60:61], v[32:33], v[8:9]
	v_mul_f64 v[8:9], v[30:31], v[8:9]
	;; [unrolled: 3-line block ×3, first 2 shown]
	v_fma_f64 v[0:1], v[26:27], v[2:3], v[0:1]
	v_fma_f64 v[2:3], v[2:3], v[28:29], -v[4:5]
	s_waitcnt vmcnt(2) lgkmcnt(2)
	v_mul_f64 v[64:65], v[40:41], v[16:17]
	v_mul_f64 v[16:17], v[38:39], v[16:17]
	v_fma_f64 v[4:5], v[30:31], v[6:7], v[60:61]
	v_fma_f64 v[6:7], v[6:7], v[32:33], -v[8:9]
	s_waitcnt vmcnt(1) lgkmcnt(1)
	v_mul_f64 v[66:67], v[44:45], v[20:21]
	v_mul_f64 v[20:21], v[42:43], v[20:21]
	s_waitcnt vmcnt(0) lgkmcnt(0)
	v_mul_f64 v[68:69], v[48:49], v[24:25]
	v_mul_f64 v[24:25], v[46:47], v[24:25]
	v_fma_f64 v[8:9], v[34:35], v[10:11], v[62:63]
	v_fma_f64 v[10:11], v[10:11], v[36:37], -v[12:13]
	v_fma_f64 v[12:13], v[38:39], v[14:15], v[64:65]
	v_fma_f64 v[14:15], v[14:15], v[40:41], -v[16:17]
	;; [unrolled: 2-line block ×4, first 2 shown]
	v_mul_f64 v[0:1], v[0:1], s[2:3]
	v_mul_f64 v[2:3], v[2:3], s[2:3]
	;; [unrolled: 1-line block ×12, first 2 shown]
	v_add_co_u32_e32 v24, vcc, s4, v58
	v_addc_co_u32_e32 v25, vcc, v59, v70, vcc
	global_store_dwordx4 v[50:51], v[0:3], off
	global_store_dwordx4 v[52:53], v[4:7], off
	;; [unrolled: 1-line block ×6, first 2 shown]
.LBB0_31:
	s_endpgm
	.section	.rodata,"a",@progbits
	.p2align	6, 0x0
	.amdhsa_kernel bluestein_single_fwd_len1080_dim1_dp_op_CI_CI
		.amdhsa_group_segment_fixed_size 34560
		.amdhsa_private_segment_fixed_size 0
		.amdhsa_kernarg_size 104
		.amdhsa_user_sgpr_count 6
		.amdhsa_user_sgpr_private_segment_buffer 1
		.amdhsa_user_sgpr_dispatch_ptr 0
		.amdhsa_user_sgpr_queue_ptr 0
		.amdhsa_user_sgpr_kernarg_segment_ptr 1
		.amdhsa_user_sgpr_dispatch_id 0
		.amdhsa_user_sgpr_flat_scratch_init 0
		.amdhsa_user_sgpr_private_segment_size 0
		.amdhsa_uses_dynamic_stack 0
		.amdhsa_system_sgpr_private_segment_wavefront_offset 0
		.amdhsa_system_sgpr_workgroup_id_x 1
		.amdhsa_system_sgpr_workgroup_id_y 0
		.amdhsa_system_sgpr_workgroup_id_z 0
		.amdhsa_system_sgpr_workgroup_info 0
		.amdhsa_system_vgpr_workitem_id 0
		.amdhsa_next_free_vgpr 237
		.amdhsa_next_free_sgpr 24
		.amdhsa_reserve_vcc 1
		.amdhsa_reserve_flat_scratch 0
		.amdhsa_float_round_mode_32 0
		.amdhsa_float_round_mode_16_64 0
		.amdhsa_float_denorm_mode_32 3
		.amdhsa_float_denorm_mode_16_64 3
		.amdhsa_dx10_clamp 1
		.amdhsa_ieee_mode 1
		.amdhsa_fp16_overflow 0
		.amdhsa_exception_fp_ieee_invalid_op 0
		.amdhsa_exception_fp_denorm_src 0
		.amdhsa_exception_fp_ieee_div_zero 0
		.amdhsa_exception_fp_ieee_overflow 0
		.amdhsa_exception_fp_ieee_underflow 0
		.amdhsa_exception_fp_ieee_inexact 0
		.amdhsa_exception_int_div_zero 0
	.end_amdhsa_kernel
	.text
.Lfunc_end0:
	.size	bluestein_single_fwd_len1080_dim1_dp_op_CI_CI, .Lfunc_end0-bluestein_single_fwd_len1080_dim1_dp_op_CI_CI
                                        ; -- End function
	.section	.AMDGPU.csdata,"",@progbits
; Kernel info:
; codeLenInByte = 14408
; NumSgprs: 28
; NumVgprs: 237
; ScratchSize: 0
; MemoryBound: 0
; FloatMode: 240
; IeeeMode: 1
; LDSByteSize: 34560 bytes/workgroup (compile time only)
; SGPRBlocks: 3
; VGPRBlocks: 59
; NumSGPRsForWavesPerEU: 28
; NumVGPRsForWavesPerEU: 237
; Occupancy: 1
; WaveLimiterHint : 1
; COMPUTE_PGM_RSRC2:SCRATCH_EN: 0
; COMPUTE_PGM_RSRC2:USER_SGPR: 6
; COMPUTE_PGM_RSRC2:TRAP_HANDLER: 0
; COMPUTE_PGM_RSRC2:TGID_X_EN: 1
; COMPUTE_PGM_RSRC2:TGID_Y_EN: 0
; COMPUTE_PGM_RSRC2:TGID_Z_EN: 0
; COMPUTE_PGM_RSRC2:TIDIG_COMP_CNT: 0
	.type	__hip_cuid_11b480b0f15aa7ed,@object ; @__hip_cuid_11b480b0f15aa7ed
	.section	.bss,"aw",@nobits
	.globl	__hip_cuid_11b480b0f15aa7ed
__hip_cuid_11b480b0f15aa7ed:
	.byte	0                               ; 0x0
	.size	__hip_cuid_11b480b0f15aa7ed, 1

	.ident	"AMD clang version 19.0.0git (https://github.com/RadeonOpenCompute/llvm-project roc-6.4.0 25133 c7fe45cf4b819c5991fe208aaa96edf142730f1d)"
	.section	".note.GNU-stack","",@progbits
	.addrsig
	.addrsig_sym __hip_cuid_11b480b0f15aa7ed
	.amdgpu_metadata
---
amdhsa.kernels:
  - .args:
      - .actual_access:  read_only
        .address_space:  global
        .offset:         0
        .size:           8
        .value_kind:     global_buffer
      - .actual_access:  read_only
        .address_space:  global
        .offset:         8
        .size:           8
        .value_kind:     global_buffer
      - .actual_access:  read_only
        .address_space:  global
        .offset:         16
        .size:           8
        .value_kind:     global_buffer
      - .actual_access:  read_only
        .address_space:  global
        .offset:         24
        .size:           8
        .value_kind:     global_buffer
      - .actual_access:  read_only
        .address_space:  global
        .offset:         32
        .size:           8
        .value_kind:     global_buffer
      - .offset:         40
        .size:           8
        .value_kind:     by_value
      - .address_space:  global
        .offset:         48
        .size:           8
        .value_kind:     global_buffer
      - .address_space:  global
        .offset:         56
        .size:           8
        .value_kind:     global_buffer
      - .address_space:  global
        .offset:         64
        .size:           8
        .value_kind:     global_buffer
      - .address_space:  global
        .offset:         72
        .size:           8
        .value_kind:     global_buffer
      - .offset:         80
        .size:           4
        .value_kind:     by_value
      - .address_space:  global
        .offset:         88
        .size:           8
        .value_kind:     global_buffer
      - .address_space:  global
        .offset:         96
        .size:           8
        .value_kind:     global_buffer
    .group_segment_fixed_size: 34560
    .kernarg_segment_align: 8
    .kernarg_segment_size: 104
    .language:       OpenCL C
    .language_version:
      - 2
      - 0
    .max_flat_workgroup_size: 216
    .name:           bluestein_single_fwd_len1080_dim1_dp_op_CI_CI
    .private_segment_fixed_size: 0
    .sgpr_count:     28
    .sgpr_spill_count: 0
    .symbol:         bluestein_single_fwd_len1080_dim1_dp_op_CI_CI.kd
    .uniform_work_group_size: 1
    .uses_dynamic_stack: false
    .vgpr_count:     237
    .vgpr_spill_count: 0
    .wavefront_size: 64
amdhsa.target:   amdgcn-amd-amdhsa--gfx906
amdhsa.version:
  - 1
  - 2
...

	.end_amdgpu_metadata
